;; amdgpu-corpus repo=pytorch/pytorch kind=compiled arch=gfx90a opt=O3
	.text
	.amdgcn_target "amdgcn-amd-amdhsa--gfx90a"
	.amdhsa_code_object_version 6
	.section	.text._ZN2at6native12_GLOBAL__N_125multi_tensor_apply_kernelINS1_32FusedOptimizerTensorListMetadataILi3EEENS1_23FusedAdagradMathFunctorIdEEJPKfddddbS8_S8_EEEvT_T0_DpT1_,"axG",@progbits,_ZN2at6native12_GLOBAL__N_125multi_tensor_apply_kernelINS1_32FusedOptimizerTensorListMetadataILi3EEENS1_23FusedAdagradMathFunctorIdEEJPKfddddbS8_S8_EEEvT_T0_DpT1_,comdat
	.globl	_ZN2at6native12_GLOBAL__N_125multi_tensor_apply_kernelINS1_32FusedOptimizerTensorListMetadataILi3EEENS1_23FusedAdagradMathFunctorIdEEJPKfddddbS8_S8_EEEvT_T0_DpT1_ ; -- Begin function _ZN2at6native12_GLOBAL__N_125multi_tensor_apply_kernelINS1_32FusedOptimizerTensorListMetadataILi3EEENS1_23FusedAdagradMathFunctorIdEEJPKfddddbS8_S8_EEEvT_T0_DpT1_
	.p2align	8
	.type	_ZN2at6native12_GLOBAL__N_125multi_tensor_apply_kernelINS1_32FusedOptimizerTensorListMetadataILi3EEENS1_23FusedAdagradMathFunctorIdEEJPKfddddbS8_S8_EEEvT_T0_DpT1_,@function
_ZN2at6native12_GLOBAL__N_125multi_tensor_apply_kernelINS1_32FusedOptimizerTensorListMetadataILi3EEENS1_23FusedAdagradMathFunctorIdEEJPKfddddbS8_S8_EEEvT_T0_DpT1_: ; @_ZN2at6native12_GLOBAL__N_125multi_tensor_apply_kernelINS1_32FusedOptimizerTensorListMetadataILi3EEENS1_23FusedAdagradMathFunctorIdEEJPKfddddbS8_S8_EEEvT_T0_DpT1_
; %bb.0:
	v_mov_b32_e32 v1, s6
	global_load_ubyte v1, v1, s[4:5] offset:1920
	s_load_dwordx8 s[8:15], s[4:5], 0xdd0
	s_add_u32 s0, s4, s6
	s_mul_hi_u32 s1, s6, 3
	s_mul_i32 s6, s6, 3
	s_addc_u32 s2, s5, 0
	s_add_u32 s0, s0, s6
	s_addc_u32 s1, s2, s1
	s_waitcnt lgkmcnt(0)
	s_cmp_eq_u64 s[8:9], 0
	v_pk_mov_b32 v[2:3], s[10:11], s[10:11] op_sel:[0,1]
	s_waitcnt vmcnt(0)
	v_readfirstlane_b32 s6, v1
	s_cbranch_scc1 .LBB0_2
; %bb.1:
	s_load_dword s2, s[8:9], 0x0
	s_waitcnt lgkmcnt(0)
	v_cvt_f64_f32_e32 v[2:3], s2
.LBB0_2:
	s_load_dwordx4 s[16:19], s[4:5], 0xe00
	s_waitcnt lgkmcnt(0)
	s_cmp_eq_u64 s[18:19], 0
	s_cselect_b64 s[2:3], -1, 0
	s_and_b64 vcc, exec, s[2:3]
	s_cbranch_vccnz .LBB0_4
; %bb.3:
	s_load_dword s2, s[18:19], 0x0
	s_waitcnt lgkmcnt(0)
	v_cmp_neq_f32_e64 s[2:3], s2, 1.0
.LBB0_4:
	s_andn2_b64 vcc, exec, s[2:3]
	s_cbranch_vccnz .LBB0_74
; %bb.5:
	s_load_dword s3, s[4:5], 0xdf8
	s_load_dword s2, s[0:1], 0x8c0
	s_waitcnt lgkmcnt(0)
	s_bitcmp1_b32 s3, 0
	s_cselect_b64 s[0:1], -1, 0
	s_and_b32 s3, s6, 0xff
	s_lshl_b32 s20, s3, 3
	s_load_dwordx2 s[6:7], s[4:5], s20 offset:0x600
	s_load_dwordx2 s[18:19], s[4:5], 0xdf0
	s_ashr_i32 s3, s2, 31
	s_lshl_b64 s[8:9], s[2:3], 16
	s_load_dwordx2 s[24:25], s[4:5], s20 offset:0x480
	s_waitcnt lgkmcnt(0)
	s_load_dword s21, s[6:7], 0x0
	s_load_dwordx2 s[10:11], s[4:5], s20 offset:0x0
	s_load_dwordx2 s[30:31], s[4:5], s20 offset:0x180
	;; [unrolled: 1-line block ×3, first 2 shown]
	s_sub_u32 s20, s24, s8
	s_waitcnt lgkmcnt(0)
	v_add_f32_e64 v1, s21, -1.0
	v_cvt_f64_f32_e32 v[4:5], v1
	v_fma_f64 v[4:5], v[4:5], s[12:13], 1.0
	s_subb_u32 s21, s25, s9
	s_lshl_b64 s[22:23], s[2:3], 19
	v_div_scale_f64 v[6:7], s[6:7], v[4:5], v[4:5], v[2:3]
	s_add_u32 s33, s10, s22
	s_addc_u32 s38, s11, s23
	s_and_b32 s6, s33, 31
	v_rcp_f64_e32 v[8:9], v[6:7]
	s_add_u32 s39, s30, s22
	s_addc_u32 s40, s31, s23
	s_add_u32 s41, s34, s22
	s_addc_u32 s42, s35, s23
	s_or_b32 s2, s41, s39
	v_fma_f64 v[12:13], -v[6:7], v[8:9], 1.0
	s_and_b32 s2, s2, 31
	v_fmac_f64_e32 v[8:9], v[8:9], v[12:13]
	s_cmp_lg_u32 s2, 0
	v_fma_f64 v[12:13], -v[6:7], v[8:9], 1.0
	s_cselect_b64 s[2:3], -1, 0
	s_and_b32 s7, s24, 3
	v_div_scale_f64 v[10:11], vcc, v[2:3], v[4:5], v[2:3]
	v_fmac_f64_e32 v[8:9], v[8:9], v[12:13]
	s_mov_b32 s13, 0
	s_or_b32 s12, s6, s7
	v_mul_f64 v[12:13], v[10:11], v[8:9]
	s_cmp_lg_u64 s[12:13], 0
	v_fma_f64 v[6:7], -v[6:7], v[12:13], v[10:11]
	s_cselect_b64 s[6:7], -1, 0
	v_div_fmas_f64 v[6:7], v[6:7], v[8:9], v[12:13]
	s_or_b64 s[2:3], s[2:3], s[6:7]
	v_div_fixup_f64 v[26:27], v[6:7], v[4:5], v[2:3]
	s_andn2_b64 vcc, exec, s[2:3]
	s_mov_b64 s[2:3], -1
	s_cbranch_vccz .LBB0_20
; %bb.6:
	v_mov_b32_e32 v29, 0
	v_lshlrev_b32_e32 v28, 2, v0
	v_cmp_gt_i64_e32 vcc, s[20:21], v[28:29]
	s_and_saveexec_b64 s[24:25], vcc
	s_cbranch_execz .LBB0_19
; %bb.7:
	s_load_dword s8, s[4:5], 0xe1c
	s_cmp_lg_u64 s[16:17], 0
	s_cselect_b64 s[6:7], -1, 0
	v_cndmask_b32_e64 v1, 0, 1, s[6:7]
	s_mov_b32 s28, 0
	s_waitcnt lgkmcnt(0)
	s_and_b32 s8, s8, 0xffff
	v_add_lshl_u32 v28, v0, s8, 2
	s_mov_b64 s[26:27], 0
	v_cmp_neq_f64_e64 s[2:3], s[14:15], 0
	s_lshl_b32 s12, s8, 2
	v_lshlrev_b32_e32 v30, 5, v0
	s_lshl_b32 s43, s8, 5
	v_cmp_ne_u32_e64 s[6:7], 1, v1
	s_brev_b32 s29, 8
	v_mov_b32_e32 v1, 0x260
	s_mov_b64 s[36:37], 0xffff
	v_mov_b32_e32 v31, 0xffffff80
	v_pk_mov_b32 v[32:33], v[28:29], v[28:29] op_sel:[0,1]
	s_branch .LBB0_9
.LBB0_8:                                ;   in Loop: Header=BB0_9 Depth=1
	v_cmp_le_i64_e32 vcc, s[20:21], v[32:33]
	v_cmp_lt_u64_e64 s[8:9], s[36:37], v[32:33]
	s_or_b64 s[8:9], vcc, s[8:9]
	s_add_u32 s33, s33, s43
	s_addc_u32 s38, s38, 0
	s_add_u32 s41, s41, s43
	s_addc_u32 s42, s42, 0
	;; [unrolled: 2-line block ×3, first 2 shown]
	global_store_dwordx4 v[34:35], v[10:13], off
	global_store_dwordx4 v[34:35], v[2:5], off offset:16
	s_and_b64 s[8:9], exec, s[8:9]
	v_mov_b32_e32 v2, s13
	v_add_co_u32_e32 v32, vcc, s12, v32
	s_or_b64 s[26:27], s[8:9], s[26:27]
	v_addc_co_u32_e32 v33, vcc, v33, v2, vcc
	s_andn2_b64 exec, exec, s[26:27]
	s_cbranch_execz .LBB0_19
.LBB0_9:                                ; =>This Inner Loop Header: Depth=1
	v_mov_b32_e32 v2, s38
	v_add_co_u32_e32 v38, vcc, s33, v30
	v_addc_co_u32_e32 v39, vcc, 0, v2, vcc
	v_mov_b32_e32 v2, s40
	v_add_co_u32_e32 v36, vcc, s39, v30
	v_addc_co_u32_e32 v37, vcc, 0, v2, vcc
	;; [unrolled: 3-line block ×3, first 2 shown]
	global_load_dwordx4 v[18:21], v[38:39], off offset:16
	global_load_dwordx4 v[22:25], v[38:39], off
	global_load_dwordx4 v[6:9], v[36:37], off offset:16
	global_load_dwordx4 v[14:17], v[36:37], off
	global_load_dwordx4 v[2:5], v[34:35], off offset:16
	global_load_dwordx4 v[10:13], v[34:35], off
	s_and_b64 vcc, exec, s[6:7]
	s_cbranch_vccnz .LBB0_11
; %bb.10:                               ;   in Loop: Header=BB0_9 Depth=1
	global_load_dword v28, v29, s[16:17]
	s_waitcnt vmcnt(0)
	v_cvt_f64_f32_e32 v[40:41], v28
	v_div_scale_f64 v[42:43], s[8:9], v[40:41], v[40:41], v[14:15]
	v_rcp_f64_e32 v[44:45], v[42:43]
	v_div_scale_f64 v[46:47], vcc, v[14:15], v[40:41], v[14:15]
	v_fma_f64 v[48:49], -v[42:43], v[44:45], 1.0
	v_fmac_f64_e32 v[44:45], v[44:45], v[48:49]
	v_fma_f64 v[48:49], -v[42:43], v[44:45], 1.0
	v_fmac_f64_e32 v[44:45], v[44:45], v[48:49]
	v_mul_f64 v[48:49], v[46:47], v[44:45]
	v_fma_f64 v[42:43], -v[42:43], v[48:49], v[46:47]
	v_div_fmas_f64 v[42:43], v[42:43], v[44:45], v[48:49]
	v_div_fixup_f64 v[14:15], v[42:43], v[40:41], v[14:15]
.LBB0_11:                               ;   in Loop: Header=BB0_9 Depth=1
	s_and_b64 vcc, exec, s[6:7]
	s_cbranch_vccnz .LBB0_13
; %bb.12:                               ;   in Loop: Header=BB0_9 Depth=1
	global_load_dword v28, v29, s[16:17]
	s_waitcnt vmcnt(0)
	v_cvt_f64_f32_e32 v[40:41], v28
	v_div_scale_f64 v[42:43], s[8:9], v[40:41], v[40:41], v[16:17]
	v_rcp_f64_e32 v[44:45], v[42:43]
	v_div_scale_f64 v[46:47], vcc, v[16:17], v[40:41], v[16:17]
	v_fma_f64 v[48:49], -v[42:43], v[44:45], 1.0
	v_fmac_f64_e32 v[44:45], v[44:45], v[48:49]
	v_fma_f64 v[48:49], -v[42:43], v[44:45], 1.0
	v_fmac_f64_e32 v[44:45], v[44:45], v[48:49]
	v_mul_f64 v[48:49], v[46:47], v[44:45]
	v_fma_f64 v[42:43], -v[42:43], v[48:49], v[46:47]
	v_div_fmas_f64 v[42:43], v[42:43], v[44:45], v[48:49]
	v_div_fixup_f64 v[16:17], v[42:43], v[40:41], v[16:17]
.LBB0_13:                               ;   in Loop: Header=BB0_9 Depth=1
	;; [unrolled: 18-line block ×4, first 2 shown]
	s_waitcnt vmcnt(3)
	v_xor_b32_e32 v28, 0x80000000, v7
	v_cndmask_b32_e64 v41, v7, v28, s[0:1]
	v_cndmask_b32_e64 v40, v6, v6, s[0:1]
	v_pk_mov_b32 v[42:43], v[40:41], v[40:41] op_sel:[0,1]
	v_fmac_f64_e32 v[42:43], s[14:15], v[18:19]
	v_cndmask_b32_e64 v41, v41, v43, s[2:3]
	v_cndmask_b32_e64 v40, v40, v42, s[2:3]
	s_waitcnt vmcnt(1)
	v_fmac_f64_e32 v[2:3], v[40:41], v[40:41]
	v_cmp_gt_f64_e32 vcc, s[28:29], v[2:3]
	v_cndmask_b32_e64 v28, 0, 1, vcc
	v_lshlrev_b32_e32 v28, 8, v28
	v_ldexp_f64 v[42:43], v[2:3], v28
	v_rsq_f64_e32 v[44:45], v[42:43]
	v_cndmask_b32_e32 v28, 0, v31, vcc
	v_cmp_class_f64_e32 vcc, v[42:43], v1
	v_mul_f64 v[40:41], v[26:27], v[40:41]
	v_mul_f64 v[46:47], v[42:43], v[44:45]
	v_mul_f64 v[44:45], v[44:45], 0.5
	v_fma_f64 v[48:49], -v[44:45], v[46:47], 0.5
	v_fmac_f64_e32 v[46:47], v[46:47], v[48:49]
	v_fma_f64 v[50:51], -v[46:47], v[46:47], v[42:43]
	v_fmac_f64_e32 v[44:45], v[44:45], v[48:49]
	v_fmac_f64_e32 v[46:47], v[50:51], v[44:45]
	v_fma_f64 v[48:49], -v[46:47], v[46:47], v[42:43]
	v_fmac_f64_e32 v[46:47], v[48:49], v[44:45]
	v_ldexp_f64 v[44:45], v[46:47], v28
	v_xor_b32_e32 v28, 0x80000000, v17
	v_cndmask_b32_e64 v51, v17, v28, s[0:1]
	v_cndmask_b32_e64 v50, v16, v16, s[0:1]
	v_cndmask_b32_e32 v43, v45, v43, vcc
	v_cndmask_b32_e32 v42, v44, v42, vcc
	v_pk_mov_b32 v[52:53], v[50:51], v[50:51] op_sel:[0,1]
	v_add_f64 v[42:43], v[42:43], s[18:19]
	v_fmac_f64_e32 v[52:53], s[14:15], v[24:25]
	v_div_scale_f64 v[44:45], s[8:9], v[42:43], v[42:43], v[40:41]
	v_cndmask_b32_e64 v51, v51, v53, s[2:3]
	v_cndmask_b32_e64 v50, v50, v52, s[2:3]
	v_rcp_f64_e32 v[46:47], v[44:45]
	s_waitcnt vmcnt(0)
	v_fmac_f64_e32 v[12:13], v[50:51], v[50:51]
	v_cmp_gt_f64_e64 s[8:9], s[28:29], v[12:13]
	v_cndmask_b32_e64 v28, 0, 1, s[8:9]
	v_lshlrev_b32_e32 v28, 8, v28
	v_fma_f64 v[48:49], -v[44:45], v[46:47], 1.0
	v_ldexp_f64 v[52:53], v[12:13], v28
	v_fmac_f64_e32 v[46:47], v[46:47], v[48:49]
	v_rsq_f64_e32 v[54:55], v[52:53]
	v_fma_f64 v[48:49], -v[44:45], v[46:47], 1.0
	v_fmac_f64_e32 v[46:47], v[46:47], v[48:49]
	v_div_scale_f64 v[48:49], vcc, v[40:41], v[42:43], v[40:41]
	v_mul_f64 v[56:57], v[48:49], v[46:47]
	v_fma_f64 v[44:45], -v[44:45], v[56:57], v[48:49]
	v_mul_f64 v[48:49], v[26:27], v[50:51]
	v_mul_f64 v[50:51], v[52:53], v[54:55]
	v_mul_f64 v[54:55], v[54:55], 0.5
	v_fma_f64 v[58:59], -v[54:55], v[50:51], 0.5
	v_fmac_f64_e32 v[50:51], v[50:51], v[58:59]
	v_fma_f64 v[60:61], -v[50:51], v[50:51], v[52:53]
	v_fmac_f64_e32 v[54:55], v[54:55], v[58:59]
	v_fmac_f64_e32 v[50:51], v[60:61], v[54:55]
	v_fma_f64 v[58:59], -v[50:51], v[50:51], v[52:53]
	v_fmac_f64_e32 v[50:51], v[58:59], v[54:55]
	v_cndmask_b32_e64 v28, 0, v31, s[8:9]
	v_ldexp_f64 v[50:51], v[50:51], v28
	v_div_fmas_f64 v[44:45], v[44:45], v[46:47], v[56:57]
	v_xor_b32_e32 v28, 0x80000000, v15
	v_cmp_class_f64_e64 s[8:9], v[52:53], v1
	v_div_fixup_f64 v[40:41], v[44:45], v[42:43], v[40:41]
	v_cndmask_b32_e64 v43, v15, v28, s[0:1]
	v_cndmask_b32_e64 v42, v14, v14, s[0:1]
	;; [unrolled: 1-line block ×4, first 2 shown]
	v_pk_mov_b32 v[44:45], v[42:43], v[42:43] op_sel:[0,1]
	v_add_f64 v[50:51], v[50:51], s[18:19]
	v_fmac_f64_e32 v[44:45], s[14:15], v[22:23]
	v_div_scale_f64 v[52:53], s[8:9], v[50:51], v[50:51], v[48:49]
	v_cndmask_b32_e64 v43, v43, v45, s[2:3]
	v_cndmask_b32_e64 v42, v42, v44, s[2:3]
	v_rcp_f64_e32 v[54:55], v[52:53]
	v_fmac_f64_e32 v[10:11], v[42:43], v[42:43]
	v_cmp_gt_f64_e64 s[8:9], s[28:29], v[10:11]
	v_cndmask_b32_e64 v28, 0, 1, s[8:9]
	v_lshlrev_b32_e32 v28, 8, v28
	v_add_f64 v[18:19], v[18:19], -v[40:41]
	v_fma_f64 v[40:41], -v[52:53], v[54:55], 1.0
	v_ldexp_f64 v[44:45], v[10:11], v28
	v_fmac_f64_e32 v[54:55], v[54:55], v[40:41]
	v_rsq_f64_e32 v[46:47], v[44:45]
	v_fma_f64 v[40:41], -v[52:53], v[54:55], 1.0
	v_fmac_f64_e32 v[54:55], v[54:55], v[40:41]
	v_div_scale_f64 v[40:41], vcc, v[48:49], v[50:51], v[48:49]
	v_mul_f64 v[56:57], v[40:41], v[54:55]
	v_fma_f64 v[40:41], -v[52:53], v[56:57], v[40:41]
	v_mul_f64 v[52:53], v[44:45], v[46:47]
	v_mul_f64 v[46:47], v[46:47], 0.5
	v_fma_f64 v[58:59], -v[46:47], v[52:53], 0.5
	v_fmac_f64_e32 v[52:53], v[52:53], v[58:59]
	v_fma_f64 v[60:61], -v[52:53], v[52:53], v[44:45]
	v_fmac_f64_e32 v[46:47], v[46:47], v[58:59]
	v_fmac_f64_e32 v[52:53], v[60:61], v[46:47]
	v_fma_f64 v[58:59], -v[52:53], v[52:53], v[44:45]
	v_fmac_f64_e32 v[52:53], v[58:59], v[46:47]
	v_cndmask_b32_e64 v28, 0, v31, s[8:9]
	v_ldexp_f64 v[46:47], v[52:53], v28
	v_div_fmas_f64 v[40:41], v[40:41], v[54:55], v[56:57]
	v_xor_b32_e32 v28, 0x80000000, v9
	v_cmp_class_f64_e64 s[8:9], v[44:45], v1
	v_div_fixup_f64 v[40:41], v[40:41], v[50:51], v[48:49]
	v_cndmask_b32_e64 v49, v9, v28, s[0:1]
	v_cndmask_b32_e64 v48, v8, v8, s[0:1]
	;; [unrolled: 1-line block ×4, first 2 shown]
	v_pk_mov_b32 v[50:51], v[48:49], v[48:49] op_sel:[0,1]
	v_mul_f64 v[42:43], v[26:27], v[42:43]
	v_add_f64 v[44:45], v[44:45], s[18:19]
	v_fmac_f64_e32 v[50:51], s[14:15], v[20:21]
	v_div_scale_f64 v[46:47], s[8:9], v[44:45], v[44:45], v[42:43]
	v_cndmask_b32_e64 v49, v49, v51, s[2:3]
	v_cndmask_b32_e64 v48, v48, v50, s[2:3]
	v_rcp_f64_e32 v[52:53], v[46:47]
	v_fmac_f64_e32 v[4:5], v[48:49], v[48:49]
	v_cmp_gt_f64_e64 s[8:9], s[28:29], v[4:5]
	v_cndmask_b32_e64 v28, 0, 1, s[8:9]
	v_lshlrev_b32_e32 v28, 8, v28
	v_add_f64 v[24:25], v[24:25], -v[40:41]
	v_fma_f64 v[40:41], -v[46:47], v[52:53], 1.0
	v_ldexp_f64 v[50:51], v[4:5], v28
	v_fmac_f64_e32 v[52:53], v[52:53], v[40:41]
	v_rsq_f64_e32 v[54:55], v[50:51]
	v_fma_f64 v[40:41], -v[46:47], v[52:53], 1.0
	v_fmac_f64_e32 v[52:53], v[52:53], v[40:41]
	v_div_scale_f64 v[40:41], vcc, v[42:43], v[44:45], v[42:43]
	v_mul_f64 v[56:57], v[40:41], v[52:53]
	v_fma_f64 v[40:41], -v[46:47], v[56:57], v[40:41]
	v_mul_f64 v[46:47], v[26:27], v[48:49]
	v_mul_f64 v[48:49], v[50:51], v[54:55]
	v_mul_f64 v[54:55], v[54:55], 0.5
	v_fma_f64 v[58:59], -v[54:55], v[48:49], 0.5
	v_fmac_f64_e32 v[48:49], v[48:49], v[58:59]
	v_fma_f64 v[60:61], -v[48:49], v[48:49], v[50:51]
	v_fmac_f64_e32 v[54:55], v[54:55], v[58:59]
	v_fmac_f64_e32 v[48:49], v[60:61], v[54:55]
	v_fma_f64 v[58:59], -v[48:49], v[48:49], v[50:51]
	v_fmac_f64_e32 v[48:49], v[58:59], v[54:55]
	v_cndmask_b32_e64 v28, 0, v31, s[8:9]
	v_ldexp_f64 v[48:49], v[48:49], v28
	v_cmp_class_f64_e64 s[8:9], v[50:51], v1
	v_cndmask_b32_e64 v49, v49, v51, s[8:9]
	v_cndmask_b32_e64 v48, v48, v50, s[8:9]
	v_add_f64 v[48:49], v[48:49], s[18:19]
	v_div_scale_f64 v[50:51], s[8:9], v[48:49], v[48:49], v[46:47]
	v_rcp_f64_e32 v[54:55], v[50:51]
	v_div_fmas_f64 v[40:41], v[40:41], v[52:53], v[56:57]
	v_div_fixup_f64 v[40:41], v[40:41], v[44:45], v[42:43]
	v_add_f64 v[22:23], v[22:23], -v[40:41]
	v_fma_f64 v[40:41], -v[50:51], v[54:55], 1.0
	v_fmac_f64_e32 v[54:55], v[54:55], v[40:41]
	v_fma_f64 v[40:41], -v[50:51], v[54:55], 1.0
	v_fmac_f64_e32 v[54:55], v[54:55], v[40:41]
	v_div_scale_f64 v[40:41], vcc, v[46:47], v[48:49], v[46:47]
	v_mul_f64 v[42:43], v[40:41], v[54:55]
	v_fma_f64 v[40:41], -v[50:51], v[42:43], v[40:41]
	global_store_dwordx4 v[38:39], v[22:25], off
	s_nop 0
	v_div_fmas_f64 v[40:41], v[40:41], v[54:55], v[42:43]
	v_div_fixup_f64 v[40:41], v[40:41], v[48:49], v[46:47]
	v_add_f64 v[20:21], v[20:21], -v[40:41]
	s_and_b64 vcc, exec, s[6:7]
	global_store_dwordx4 v[38:39], v[18:21], off offset:16
	s_cbranch_vccnz .LBB0_8
; %bb.18:                               ;   in Loop: Header=BB0_9 Depth=1
	global_store_dwordx4 v[36:37], v[14:17], off
	global_store_dwordx4 v[36:37], v[6:9], off offset:16
	s_branch .LBB0_8
.LBB0_19:
	s_or_b64 exec, exec, s[24:25]
	s_mov_b64 s[2:3], 0
.LBB0_20:
	s_andn2_b64 vcc, exec, s[2:3]
	s_cbranch_vccnz .LBB0_74
; %bb.21:
	v_cmp_lt_i64_e64 s[2:3], s[20:21], 1
	s_and_b64 vcc, exec, s[2:3]
	s_cbranch_vccnz .LBB0_74
; %bb.22:
	s_load_dword s2, s[4:5], 0xe1c
	v_mov_b32_e32 v2, 0x10000
	v_mov_b32_e32 v3, 0
	v_cmp_lt_u64_e32 vcc, s[20:21], v[2:3]
	v_lshlrev_b32_e32 v14, 3, v0
	s_waitcnt lgkmcnt(0)
	s_and_b32 s6, s2, 0xffff
	s_and_b64 s[2:3], vcc, exec
	v_mov_b32_e32 v19, s11
	v_add_co_u32_e32 v2, vcc, s10, v14
	v_addc_co_u32_e32 v1, vcc, 0, v19, vcc
	v_mov_b32_e32 v21, s31
	v_add_co_u32_e32 v4, vcc, s30, v14
	v_addc_co_u32_e32 v3, vcc, 0, v21, vcc
	v_mov_b32_e32 v15, 0
	v_mov_b32_e32 v23, s35
	v_add_co_u32_e32 v6, vcc, s34, v14
	v_addc_co_u32_e32 v5, vcc, 0, v23, vcc
	v_mad_u64_u32 v[12:13], s[4:5], s6, 24, v[14:15]
	v_add_co_u32_e32 v8, vcc, s10, v12
	v_addc_co_u32_e32 v7, vcc, v19, v13, vcc
	v_add_co_u32_e32 v10, vcc, s30, v12
	v_addc_co_u32_e32 v9, vcc, v21, v13, vcc
	v_add_co_u32_e32 v12, vcc, s34, v12
	s_mul_i32 s8, s6, 3
	v_addc_co_u32_e32 v11, vcc, v23, v13, vcc
	s_cselect_b32 s25, s21, 0
	s_cselect_b32 s24, s20, 0x10000
	s_lshl_b32 s7, s6, 1
	v_add_co_u32_e32 v25, vcc, s8, v0
	s_cmp_lg_u64 s[16:17], 0
	v_addc_co_u32_e64 v54, s[4:5], 0, 0, vcc
	s_cselect_b64 s[28:29], -1, 0
	s_lshl_b32 s4, s6, 4
	v_add_co_u32_e32 v17, vcc, s4, v14
	v_addc_co_u32_e64 v20, s[4:5], 0, 0, vcc
	v_add_co_u32_e32 v14, vcc, s10, v17
	v_addc_co_u32_e32 v13, vcc, v19, v20, vcc
	v_add_co_u32_e32 v16, vcc, s30, v17
	v_addc_co_u32_e32 v15, vcc, v21, v20, vcc
	;; [unrolled: 2-line block ×3, first 2 shown]
	v_add_co_u32_e32 v55, vcc, s7, v0
	v_addc_co_u32_e64 v56, s[4:5], 0, 0, vcc
	v_add_co_u32_e32 v57, vcc, s6, v0
	v_lshlrev_b32_e32 v24, 3, v57
	v_addc_co_u32_e64 v58, s[4:5], 0, 0, vcc
	v_add_co_u32_e32 v20, vcc, s10, v24
	v_addc_co_u32_e32 v19, vcc, 0, v19, vcc
	v_add_co_u32_e32 v22, vcc, s30, v24
	v_addc_co_u32_e32 v21, vcc, 0, v21, vcc
	v_add_co_u32_e32 v24, vcc, s34, v24
	s_mov_b32 s30, 0
	s_mov_b32 s33, 0
	s_mov_b64 s[26:27], 0
	s_lshl_b32 s36, s6, 2
	v_cmp_neq_f64_e64 s[2:3], s[14:15], 0
	s_lshl_b32 s37, s6, 5
	v_addc_co_u32_e32 v23, vcc, 0, v23, vcc
	s_brev_b32 s31, 8
	v_mov_b32_e32 v59, 0x260
	v_mov_b32_e32 v60, 0xffffff80
	s_branch .LBB0_24
.LBB0_23:                               ;   in Loop: Header=BB0_24 Depth=1
	s_or_b64 exec, exec, s[4:5]
	s_add_u32 s26, s26, s36
	s_addc_u32 s27, s27, 0
	v_pk_mov_b32 v[28:29], s[20:21], s[20:21] op_sel:[0,1]
	v_cmp_ge_i64_e32 vcc, s[26:27], v[28:29]
	v_mov_b32_e32 v28, 0xffff
	v_mov_b32_e32 v29, 0
	v_cmp_gt_u64_e64 s[4:5], s[26:27], v[28:29]
	s_or_b64 s[4:5], vcc, s[4:5]
	v_mov_b32_e32 v28, s33
	v_add_co_u32_e32 v2, vcc, s37, v2
	v_addc_co_u32_e32 v1, vcc, v1, v28, vcc
	v_add_co_u32_e32 v4, vcc, s37, v4
	v_addc_co_u32_e32 v3, vcc, v3, v28, vcc
	v_add_co_u32_e32 v6, vcc, s37, v6
	v_addc_co_u32_e32 v5, vcc, v5, v28, vcc
	v_add_co_u32_e32 v8, vcc, s37, v8
	v_addc_co_u32_e32 v7, vcc, v7, v28, vcc
	v_add_co_u32_e32 v10, vcc, s37, v10
	v_addc_co_u32_e32 v9, vcc, v9, v28, vcc
	v_add_co_u32_e32 v12, vcc, s37, v12
	v_addc_co_u32_e32 v11, vcc, v11, v28, vcc
	v_add_co_u32_e32 v14, vcc, s37, v14
	v_addc_co_u32_e32 v13, vcc, v13, v28, vcc
	v_add_co_u32_e32 v16, vcc, s37, v16
	v_addc_co_u32_e32 v15, vcc, v15, v28, vcc
	v_add_co_u32_e32 v18, vcc, s37, v18
	v_addc_co_u32_e32 v17, vcc, v17, v28, vcc
	v_add_co_u32_e32 v20, vcc, s37, v20
	v_addc_co_u32_e32 v19, vcc, v19, v28, vcc
	v_add_co_u32_e32 v22, vcc, s37, v22
	v_addc_co_u32_e32 v21, vcc, v21, v28, vcc
	v_add_co_u32_e32 v24, vcc, s37, v24
	v_addc_co_u32_e32 v23, vcc, v23, v28, vcc
	s_and_b64 vcc, exec, s[4:5]
	s_cbranch_vccnz .LBB0_74
.LBB0_24:                               ; =>This Inner Loop Header: Depth=1
	v_mov_b32_e32 v29, s27
	v_add_co_u32_e32 v28, vcc, s26, v0
	v_addc_co_u32_e32 v29, vcc, 0, v29, vcc
	v_cmp_gt_u64_e64 s[4:5], s[24:25], v[28:29]
	v_pk_mov_b32 v[28:29], 0, 0
	v_pk_mov_b32 v[50:51], v[28:29], v[28:29] op_sel:[0,1]
	v_pk_mov_b32 v[32:33], v[28:29], v[28:29] op_sel:[0,1]
	s_and_saveexec_b64 s[6:7], s[4:5]
	s_cbranch_execz .LBB0_26
; %bb.25:                               ;   in Loop: Header=BB0_24 Depth=1
	v_mov_b32_e32 v32, s23
	v_add_co_u32_e32 v30, vcc, s22, v4
	v_addc_co_u32_e32 v31, vcc, v3, v32, vcc
	v_add_co_u32_e32 v34, vcc, s22, v2
	v_addc_co_u32_e32 v35, vcc, v1, v32, vcc
	global_load_dwordx2 v[50:51], v[34:35], off
	global_load_dwordx2 v[32:33], v[30:31], off
.LBB0_26:                               ;   in Loop: Header=BB0_24 Depth=1
	s_or_b64 exec, exec, s[6:7]
	s_and_saveexec_b64 s[6:7], s[4:5]
	s_cbranch_execz .LBB0_28
; %bb.27:                               ;   in Loop: Header=BB0_24 Depth=1
	v_mov_b32_e32 v29, s23
	v_add_co_u32_e32 v28, vcc, s22, v6
	v_addc_co_u32_e32 v29, vcc, v5, v29, vcc
	global_load_dwordx2 v[28:29], v[28:29], off
.LBB0_28:                               ;   in Loop: Header=BB0_24 Depth=1
	s_or_b64 exec, exec, s[6:7]
	v_mov_b32_e32 v31, s27
	v_add_co_u32_e32 v30, vcc, s26, v57
	v_addc_co_u32_e32 v31, vcc, v58, v31, vcc
	v_cmp_gt_u64_e64 s[6:7], s[24:25], v[30:31]
	v_pk_mov_b32 v[30:31], 0, 0
	v_pk_mov_b32 v[48:49], v[30:31], v[30:31] op_sel:[0,1]
	v_pk_mov_b32 v[36:37], v[30:31], v[30:31] op_sel:[0,1]
	s_and_saveexec_b64 s[8:9], s[6:7]
	s_cbranch_execz .LBB0_30
; %bb.29:                               ;   in Loop: Header=BB0_24 Depth=1
	v_mov_b32_e32 v36, s23
	v_add_co_u32_e32 v34, vcc, s22, v22
	v_addc_co_u32_e32 v35, vcc, v21, v36, vcc
	v_add_co_u32_e32 v38, vcc, s22, v20
	v_addc_co_u32_e32 v39, vcc, v19, v36, vcc
	global_load_dwordx2 v[48:49], v[38:39], off
	global_load_dwordx2 v[36:37], v[34:35], off
.LBB0_30:                               ;   in Loop: Header=BB0_24 Depth=1
	s_or_b64 exec, exec, s[8:9]
	s_and_saveexec_b64 s[8:9], s[6:7]
	s_cbranch_execz .LBB0_32
; %bb.31:                               ;   in Loop: Header=BB0_24 Depth=1
	v_mov_b32_e32 v31, s23
	v_add_co_u32_e32 v30, vcc, s22, v24
	v_addc_co_u32_e32 v31, vcc, v23, v31, vcc
	global_load_dwordx2 v[30:31], v[30:31], off
.LBB0_32:                               ;   in Loop: Header=BB0_24 Depth=1
	s_or_b64 exec, exec, s[8:9]
	;; [unrolled: 28-line block ×4, first 2 shown]
	v_cndmask_b32_e64 v52, 0, 1, s[28:29]
	v_cmp_ne_u32_e64 s[12:13], 1, v52
	s_andn2_b64 vcc, exec, s[28:29]
	s_cbranch_vccnz .LBB0_42
; %bb.41:                               ;   in Loop: Header=BB0_24 Depth=1
	s_load_dword s34, s[16:17], 0x0
	s_waitcnt lgkmcnt(0)
	v_cvt_f64_f32_e32 v[52:53], s34
	s_waitcnt vmcnt(0)
	v_div_scale_f64 v[62:63], s[34:35], v[52:53], v[52:53], v[32:33]
	v_rcp_f64_e32 v[64:65], v[62:63]
	v_div_scale_f64 v[66:67], vcc, v[32:33], v[52:53], v[32:33]
	v_fma_f64 v[68:69], -v[62:63], v[64:65], 1.0
	v_fmac_f64_e32 v[64:65], v[64:65], v[68:69]
	v_fma_f64 v[68:69], -v[62:63], v[64:65], 1.0
	v_fmac_f64_e32 v[64:65], v[64:65], v[68:69]
	v_mul_f64 v[68:69], v[66:67], v[64:65]
	v_fma_f64 v[62:63], -v[62:63], v[68:69], v[66:67]
	v_div_fmas_f64 v[62:63], v[62:63], v[64:65], v[68:69]
	v_div_fixup_f64 v[32:33], v[62:63], v[52:53], v[32:33]
.LBB0_42:                               ;   in Loop: Header=BB0_24 Depth=1
	s_and_b64 vcc, exec, s[12:13]
	s_cbranch_vccnz .LBB0_44
; %bb.43:                               ;   in Loop: Header=BB0_24 Depth=1
	s_load_dword s34, s[16:17], 0x0
	s_waitcnt lgkmcnt(0)
	v_cvt_f64_f32_e32 v[52:53], s34
	s_waitcnt vmcnt(0)
	v_div_scale_f64 v[62:63], s[34:35], v[52:53], v[52:53], v[36:37]
	v_rcp_f64_e32 v[64:65], v[62:63]
	v_div_scale_f64 v[66:67], vcc, v[36:37], v[52:53], v[36:37]
	v_fma_f64 v[68:69], -v[62:63], v[64:65], 1.0
	v_fmac_f64_e32 v[64:65], v[64:65], v[68:69]
	v_fma_f64 v[68:69], -v[62:63], v[64:65], 1.0
	v_fmac_f64_e32 v[64:65], v[64:65], v[68:69]
	v_mul_f64 v[68:69], v[66:67], v[64:65]
	v_fma_f64 v[62:63], -v[62:63], v[68:69], v[66:67]
	v_div_fmas_f64 v[62:63], v[62:63], v[64:65], v[68:69]
	v_div_fixup_f64 v[36:37], v[62:63], v[52:53], v[36:37]
.LBB0_44:                               ;   in Loop: Header=BB0_24 Depth=1
	s_and_b64 vcc, exec, s[12:13]
	s_cbranch_vccnz .LBB0_46
; %bb.45:                               ;   in Loop: Header=BB0_24 Depth=1
	s_load_dword s34, s[16:17], 0x0
	s_waitcnt lgkmcnt(0)
	v_cvt_f64_f32_e32 v[52:53], s34
	s_waitcnt vmcnt(0)
	v_div_scale_f64 v[62:63], s[34:35], v[52:53], v[52:53], v[40:41]
	v_rcp_f64_e32 v[64:65], v[62:63]
	v_div_scale_f64 v[66:67], vcc, v[40:41], v[52:53], v[40:41]
	v_fma_f64 v[68:69], -v[62:63], v[64:65], 1.0
	v_fmac_f64_e32 v[64:65], v[64:65], v[68:69]
	v_fma_f64 v[68:69], -v[62:63], v[64:65], 1.0
	v_fmac_f64_e32 v[64:65], v[64:65], v[68:69]
	v_mul_f64 v[68:69], v[66:67], v[64:65]
	v_fma_f64 v[62:63], -v[62:63], v[68:69], v[66:67]
	v_div_fmas_f64 v[62:63], v[62:63], v[64:65], v[68:69]
	v_div_fixup_f64 v[40:41], v[62:63], v[52:53], v[40:41]
.LBB0_46:                               ;   in Loop: Header=BB0_24 Depth=1
	s_and_b64 vcc, exec, s[12:13]
	s_cbranch_vccnz .LBB0_48
; %bb.47:                               ;   in Loop: Header=BB0_24 Depth=1
	s_load_dword s34, s[16:17], 0x0
	s_waitcnt lgkmcnt(0)
	v_cvt_f64_f32_e32 v[52:53], s34
	s_waitcnt vmcnt(0)
	v_div_scale_f64 v[62:63], s[34:35], v[52:53], v[52:53], v[42:43]
	v_rcp_f64_e32 v[64:65], v[62:63]
	v_div_scale_f64 v[66:67], vcc, v[42:43], v[52:53], v[42:43]
	v_fma_f64 v[68:69], -v[62:63], v[64:65], 1.0
	v_fmac_f64_e32 v[64:65], v[64:65], v[68:69]
	v_fma_f64 v[68:69], -v[62:63], v[64:65], 1.0
	v_fmac_f64_e32 v[64:65], v[64:65], v[68:69]
	v_mul_f64 v[68:69], v[66:67], v[64:65]
	v_fma_f64 v[62:63], -v[62:63], v[68:69], v[66:67]
	v_div_fmas_f64 v[62:63], v[62:63], v[64:65], v[68:69]
	v_div_fixup_f64 v[42:43], v[62:63], v[52:53], v[42:43]
.LBB0_48:                               ;   in Loop: Header=BB0_24 Depth=1
	s_waitcnt vmcnt(0)
	v_xor_b32_e32 v52, 0x80000000, v33
	v_cndmask_b32_e64 v53, v33, v52, s[0:1]
	v_cndmask_b32_e64 v52, v32, v32, s[0:1]
	v_pk_mov_b32 v[62:63], v[52:53], v[52:53] op_sel:[0,1]
	v_fmac_f64_e32 v[62:63], s[14:15], v[50:51]
	v_cndmask_b32_e64 v53, v53, v63, s[2:3]
	v_cndmask_b32_e64 v52, v52, v62, s[2:3]
	v_fmac_f64_e32 v[28:29], v[52:53], v[52:53]
	s_and_saveexec_b64 s[34:35], s[4:5]
	s_cbranch_execz .LBB0_50
; %bb.49:                               ;   in Loop: Header=BB0_24 Depth=1
	v_cmp_gt_f64_e32 vcc, s[30:31], v[28:29]
	v_cndmask_b32_e64 v61, 0, 1, vcc
	v_lshlrev_b32_e32 v61, 8, v61
	v_ldexp_f64 v[62:63], v[28:29], v61
	v_rsq_f64_e32 v[64:65], v[62:63]
	v_cndmask_b32_e32 v61, 0, v60, vcc
	v_cmp_class_f64_e32 vcc, v[62:63], v59
	v_mul_f64 v[52:53], v[26:27], v[52:53]
	v_mul_f64 v[66:67], v[62:63], v[64:65]
	v_mul_f64 v[64:65], v[64:65], 0.5
	v_fma_f64 v[68:69], -v[64:65], v[66:67], 0.5
	v_fmac_f64_e32 v[66:67], v[66:67], v[68:69]
	v_fmac_f64_e32 v[64:65], v[64:65], v[68:69]
	v_fma_f64 v[68:69], -v[66:67], v[66:67], v[62:63]
	v_fmac_f64_e32 v[66:67], v[68:69], v[64:65]
	v_fma_f64 v[68:69], -v[66:67], v[66:67], v[62:63]
	v_fmac_f64_e32 v[66:67], v[68:69], v[64:65]
	v_ldexp_f64 v[64:65], v[66:67], v61
	v_cndmask_b32_e32 v63, v65, v63, vcc
	v_cndmask_b32_e32 v62, v64, v62, vcc
	v_add_f64 v[62:63], v[62:63], s[18:19]
	v_div_scale_f64 v[64:65], s[38:39], v[62:63], v[62:63], v[52:53]
	v_rcp_f64_e32 v[66:67], v[64:65]
	v_fma_f64 v[68:69], -v[64:65], v[66:67], 1.0
	v_fmac_f64_e32 v[66:67], v[66:67], v[68:69]
	v_fma_f64 v[68:69], -v[64:65], v[66:67], 1.0
	v_fmac_f64_e32 v[66:67], v[66:67], v[68:69]
	v_div_scale_f64 v[68:69], vcc, v[52:53], v[62:63], v[52:53]
	v_mul_f64 v[70:71], v[68:69], v[66:67]
	v_fma_f64 v[64:65], -v[64:65], v[70:71], v[68:69]
	s_nop 1
	v_div_fmas_f64 v[64:65], v[64:65], v[66:67], v[70:71]
	v_div_fixup_f64 v[52:53], v[64:65], v[62:63], v[52:53]
	v_add_f64 v[50:51], v[50:51], -v[52:53]
	v_mov_b32_e32 v53, s23
	v_add_co_u32_e32 v52, vcc, s22, v2
	v_addc_co_u32_e32 v53, vcc, v1, v53, vcc
	global_store_dwordx2 v[52:53], v[50:51], off
.LBB0_50:                               ;   in Loop: Header=BB0_24 Depth=1
	s_or_b64 exec, exec, s[34:35]
	v_xor_b32_e32 v50, 0x80000000, v37
	v_cndmask_b32_e64 v51, v37, v50, s[0:1]
	v_cndmask_b32_e64 v50, v36, v36, s[0:1]
	v_pk_mov_b32 v[52:53], v[50:51], v[50:51] op_sel:[0,1]
	v_fmac_f64_e32 v[52:53], s[14:15], v[48:49]
	v_cndmask_b32_e64 v51, v51, v53, s[2:3]
	v_cndmask_b32_e64 v50, v50, v52, s[2:3]
	v_fmac_f64_e32 v[30:31], v[50:51], v[50:51]
	s_and_saveexec_b64 s[34:35], s[6:7]
	s_cbranch_execz .LBB0_52
; %bb.51:                               ;   in Loop: Header=BB0_24 Depth=1
	v_cmp_gt_f64_e32 vcc, s[30:31], v[30:31]
	v_cndmask_b32_e64 v52, 0, 1, vcc
	v_lshlrev_b32_e32 v52, 8, v52
	v_ldexp_f64 v[52:53], v[30:31], v52
	v_rsq_f64_e32 v[62:63], v[52:53]
	v_cndmask_b32_e32 v61, 0, v60, vcc
	v_cmp_class_f64_e32 vcc, v[52:53], v59
	v_mul_f64 v[50:51], v[26:27], v[50:51]
	v_mul_f64 v[64:65], v[52:53], v[62:63]
	v_mul_f64 v[62:63], v[62:63], 0.5
	v_fma_f64 v[66:67], -v[62:63], v[64:65], 0.5
	v_fmac_f64_e32 v[64:65], v[64:65], v[66:67]
	v_fma_f64 v[68:69], -v[64:65], v[64:65], v[52:53]
	v_fmac_f64_e32 v[62:63], v[62:63], v[66:67]
	v_fmac_f64_e32 v[64:65], v[68:69], v[62:63]
	v_fma_f64 v[66:67], -v[64:65], v[64:65], v[52:53]
	v_fmac_f64_e32 v[64:65], v[66:67], v[62:63]
	v_ldexp_f64 v[62:63], v[64:65], v61
	v_cndmask_b32_e32 v53, v63, v53, vcc
	v_cndmask_b32_e32 v52, v62, v52, vcc
	v_add_f64 v[52:53], v[52:53], s[18:19]
	v_div_scale_f64 v[62:63], s[38:39], v[52:53], v[52:53], v[50:51]
	v_rcp_f64_e32 v[64:65], v[62:63]
	v_fma_f64 v[66:67], -v[62:63], v[64:65], 1.0
	v_fmac_f64_e32 v[64:65], v[64:65], v[66:67]
	v_fma_f64 v[66:67], -v[62:63], v[64:65], 1.0
	v_fmac_f64_e32 v[64:65], v[64:65], v[66:67]
	v_div_scale_f64 v[66:67], vcc, v[50:51], v[52:53], v[50:51]
	v_mul_f64 v[68:69], v[66:67], v[64:65]
	v_fma_f64 v[62:63], -v[62:63], v[68:69], v[66:67]
	s_nop 1
	v_div_fmas_f64 v[62:63], v[62:63], v[64:65], v[68:69]
	v_div_fixup_f64 v[50:51], v[62:63], v[52:53], v[50:51]
	v_add_f64 v[48:49], v[48:49], -v[50:51]
	v_mov_b32_e32 v51, s23
	v_add_co_u32_e32 v50, vcc, s22, v20
	v_addc_co_u32_e32 v51, vcc, v19, v51, vcc
	global_store_dwordx2 v[50:51], v[48:49], off
.LBB0_52:                               ;   in Loop: Header=BB0_24 Depth=1
	s_or_b64 exec, exec, s[34:35]
	v_xor_b32_e32 v48, 0x80000000, v41
	v_cndmask_b32_e64 v49, v41, v48, s[0:1]
	v_cndmask_b32_e64 v48, v40, v40, s[0:1]
	v_pk_mov_b32 v[50:51], v[48:49], v[48:49] op_sel:[0,1]
	v_fmac_f64_e32 v[50:51], s[14:15], v[46:47]
	v_cndmask_b32_e64 v49, v49, v51, s[2:3]
	v_cndmask_b32_e64 v48, v48, v50, s[2:3]
	v_fmac_f64_e32 v[34:35], v[48:49], v[48:49]
	s_and_saveexec_b64 s[34:35], s[8:9]
	s_cbranch_execz .LBB0_54
; %bb.53:                               ;   in Loop: Header=BB0_24 Depth=1
	v_cmp_gt_f64_e32 vcc, s[30:31], v[34:35]
	v_cndmask_b32_e64 v50, 0, 1, vcc
	v_lshlrev_b32_e32 v50, 8, v50
	v_ldexp_f64 v[50:51], v[34:35], v50
	v_rsq_f64_e32 v[52:53], v[50:51]
	v_mul_f64 v[48:49], v[26:27], v[48:49]
	v_mul_f64 v[62:63], v[50:51], v[52:53]
	v_mul_f64 v[52:53], v[52:53], 0.5
	v_fma_f64 v[64:65], -v[52:53], v[62:63], 0.5
	v_fmac_f64_e32 v[62:63], v[62:63], v[64:65]
	v_fma_f64 v[66:67], -v[62:63], v[62:63], v[50:51]
	v_fmac_f64_e32 v[52:53], v[52:53], v[64:65]
	v_fmac_f64_e32 v[62:63], v[66:67], v[52:53]
	v_fma_f64 v[64:65], -v[62:63], v[62:63], v[50:51]
	v_fmac_f64_e32 v[62:63], v[64:65], v[52:53]
	v_cndmask_b32_e32 v52, 0, v60, vcc
	v_ldexp_f64 v[52:53], v[62:63], v52
	v_cmp_class_f64_e32 vcc, v[50:51], v59
	v_cndmask_b32_e32 v51, v53, v51, vcc
	v_cndmask_b32_e32 v50, v52, v50, vcc
	v_add_f64 v[50:51], v[50:51], s[18:19]
	v_div_scale_f64 v[52:53], s[38:39], v[50:51], v[50:51], v[48:49]
	v_rcp_f64_e32 v[62:63], v[52:53]
	v_fma_f64 v[64:65], -v[52:53], v[62:63], 1.0
	v_fmac_f64_e32 v[62:63], v[62:63], v[64:65]
	v_fma_f64 v[64:65], -v[52:53], v[62:63], 1.0
	v_fmac_f64_e32 v[62:63], v[62:63], v[64:65]
	v_div_scale_f64 v[64:65], vcc, v[48:49], v[50:51], v[48:49]
	v_mul_f64 v[66:67], v[64:65], v[62:63]
	v_fma_f64 v[52:53], -v[52:53], v[66:67], v[64:65]
	s_nop 1
	v_div_fmas_f64 v[52:53], v[52:53], v[62:63], v[66:67]
	v_div_fixup_f64 v[48:49], v[52:53], v[50:51], v[48:49]
	v_add_f64 v[46:47], v[46:47], -v[48:49]
	v_mov_b32_e32 v49, s23
	v_add_co_u32_e32 v48, vcc, s22, v14
	v_addc_co_u32_e32 v49, vcc, v13, v49, vcc
	global_store_dwordx2 v[48:49], v[46:47], off
.LBB0_54:                               ;   in Loop: Header=BB0_24 Depth=1
	s_or_b64 exec, exec, s[34:35]
	v_xor_b32_e32 v46, 0x80000000, v43
	v_cndmask_b32_e64 v47, v43, v46, s[0:1]
	v_cndmask_b32_e64 v46, v42, v42, s[0:1]
	v_pk_mov_b32 v[48:49], v[46:47], v[46:47] op_sel:[0,1]
	v_fmac_f64_e32 v[48:49], s[14:15], v[44:45]
	v_cndmask_b32_e64 v47, v47, v49, s[2:3]
	v_cndmask_b32_e64 v46, v46, v48, s[2:3]
	v_fmac_f64_e32 v[38:39], v[46:47], v[46:47]
	s_and_saveexec_b64 s[34:35], s[10:11]
	s_cbranch_execz .LBB0_56
; %bb.55:                               ;   in Loop: Header=BB0_24 Depth=1
	v_cmp_gt_f64_e32 vcc, s[30:31], v[38:39]
	v_cndmask_b32_e64 v48, 0, 1, vcc
	v_lshlrev_b32_e32 v48, 8, v48
	v_ldexp_f64 v[48:49], v[38:39], v48
	v_rsq_f64_e32 v[50:51], v[48:49]
	v_mul_f64 v[46:47], v[26:27], v[46:47]
	v_mul_f64 v[52:53], v[48:49], v[50:51]
	v_mul_f64 v[50:51], v[50:51], 0.5
	v_fma_f64 v[62:63], -v[50:51], v[52:53], 0.5
	v_fmac_f64_e32 v[52:53], v[52:53], v[62:63]
	v_fma_f64 v[64:65], -v[52:53], v[52:53], v[48:49]
	v_fmac_f64_e32 v[50:51], v[50:51], v[62:63]
	v_fmac_f64_e32 v[52:53], v[64:65], v[50:51]
	v_fma_f64 v[62:63], -v[52:53], v[52:53], v[48:49]
	v_fmac_f64_e32 v[52:53], v[62:63], v[50:51]
	v_cndmask_b32_e32 v50, 0, v60, vcc
	v_ldexp_f64 v[50:51], v[52:53], v50
	v_cmp_class_f64_e32 vcc, v[48:49], v59
	v_cndmask_b32_e32 v49, v51, v49, vcc
	v_cndmask_b32_e32 v48, v50, v48, vcc
	v_add_f64 v[48:49], v[48:49], s[18:19]
	v_div_scale_f64 v[50:51], s[38:39], v[48:49], v[48:49], v[46:47]
	v_rcp_f64_e32 v[52:53], v[50:51]
	v_fma_f64 v[62:63], -v[50:51], v[52:53], 1.0
	v_fmac_f64_e32 v[52:53], v[52:53], v[62:63]
	v_fma_f64 v[62:63], -v[50:51], v[52:53], 1.0
	v_fmac_f64_e32 v[52:53], v[52:53], v[62:63]
	v_div_scale_f64 v[62:63], vcc, v[46:47], v[48:49], v[46:47]
	v_mul_f64 v[64:65], v[62:63], v[52:53]
	v_fma_f64 v[50:51], -v[50:51], v[64:65], v[62:63]
	s_nop 1
	v_div_fmas_f64 v[50:51], v[50:51], v[52:53], v[64:65]
	v_div_fixup_f64 v[46:47], v[50:51], v[48:49], v[46:47]
	v_add_f64 v[44:45], v[44:45], -v[46:47]
	v_mov_b32_e32 v47, s23
	v_add_co_u32_e32 v46, vcc, s22, v8
	v_addc_co_u32_e32 v47, vcc, v7, v47, vcc
	global_store_dwordx2 v[46:47], v[44:45], off
.LBB0_56:                               ;   in Loop: Header=BB0_24 Depth=1
	s_or_b64 exec, exec, s[34:35]
	s_and_b64 vcc, exec, s[12:13]
	s_cbranch_vccnz .LBB0_63
; %bb.57:                               ;   in Loop: Header=BB0_24 Depth=1
	s_and_saveexec_b64 s[12:13], s[4:5]
	s_cbranch_execnz .LBB0_71
; %bb.58:                               ;   in Loop: Header=BB0_24 Depth=1
	s_or_b64 exec, exec, s[12:13]
	s_and_saveexec_b64 s[12:13], s[6:7]
	s_cbranch_execnz .LBB0_72
.LBB0_59:                               ;   in Loop: Header=BB0_24 Depth=1
	s_or_b64 exec, exec, s[12:13]
	s_and_saveexec_b64 s[12:13], s[8:9]
	s_cbranch_execnz .LBB0_73
.LBB0_60:                               ;   in Loop: Header=BB0_24 Depth=1
	s_or_b64 exec, exec, s[12:13]
	s_and_saveexec_b64 s[12:13], s[10:11]
	s_cbranch_execz .LBB0_62
.LBB0_61:                               ;   in Loop: Header=BB0_24 Depth=1
	v_mov_b32_e32 v33, s23
	v_add_co_u32_e32 v32, vcc, s22, v10
	v_addc_co_u32_e32 v33, vcc, v9, v33, vcc
	global_store_dwordx2 v[32:33], v[42:43], off
.LBB0_62:                               ;   in Loop: Header=BB0_24 Depth=1
	s_or_b64 exec, exec, s[12:13]
.LBB0_63:                               ;   in Loop: Header=BB0_24 Depth=1
	s_and_saveexec_b64 s[12:13], s[4:5]
	s_cbranch_execnz .LBB0_67
; %bb.64:                               ;   in Loop: Header=BB0_24 Depth=1
	s_or_b64 exec, exec, s[12:13]
	s_and_saveexec_b64 s[4:5], s[6:7]
	s_cbranch_execnz .LBB0_68
.LBB0_65:                               ;   in Loop: Header=BB0_24 Depth=1
	s_or_b64 exec, exec, s[4:5]
	s_and_saveexec_b64 s[4:5], s[8:9]
	s_cbranch_execnz .LBB0_69
.LBB0_66:                               ;   in Loop: Header=BB0_24 Depth=1
	s_or_b64 exec, exec, s[4:5]
	s_and_saveexec_b64 s[4:5], s[10:11]
	s_cbranch_execz .LBB0_23
	s_branch .LBB0_70
.LBB0_67:                               ;   in Loop: Header=BB0_24 Depth=1
	v_mov_b32_e32 v33, s23
	v_add_co_u32_e32 v32, vcc, s22, v6
	v_addc_co_u32_e32 v33, vcc, v5, v33, vcc
	global_store_dwordx2 v[32:33], v[28:29], off
	s_or_b64 exec, exec, s[12:13]
	s_and_saveexec_b64 s[4:5], s[6:7]
	s_cbranch_execz .LBB0_65
.LBB0_68:                               ;   in Loop: Header=BB0_24 Depth=1
	v_mov_b32_e32 v29, s23
	v_add_co_u32_e32 v28, vcc, s22, v24
	v_addc_co_u32_e32 v29, vcc, v23, v29, vcc
	global_store_dwordx2 v[28:29], v[30:31], off
	s_or_b64 exec, exec, s[4:5]
	s_and_saveexec_b64 s[4:5], s[8:9]
	s_cbranch_execz .LBB0_66
.LBB0_69:                               ;   in Loop: Header=BB0_24 Depth=1
	v_mov_b32_e32 v29, s23
	v_add_co_u32_e32 v28, vcc, s22, v18
	v_addc_co_u32_e32 v29, vcc, v17, v29, vcc
	global_store_dwordx2 v[28:29], v[34:35], off
	s_or_b64 exec, exec, s[4:5]
	s_and_saveexec_b64 s[4:5], s[10:11]
	s_cbranch_execz .LBB0_23
.LBB0_70:                               ;   in Loop: Header=BB0_24 Depth=1
	v_mov_b32_e32 v29, s23
	v_add_co_u32_e32 v28, vcc, s22, v12
	v_addc_co_u32_e32 v29, vcc, v11, v29, vcc
	global_store_dwordx2 v[28:29], v[38:39], off
	s_branch .LBB0_23
.LBB0_71:                               ;   in Loop: Header=BB0_24 Depth=1
	v_mov_b32_e32 v45, s23
	v_add_co_u32_e32 v44, vcc, s22, v4
	v_addc_co_u32_e32 v45, vcc, v3, v45, vcc
	global_store_dwordx2 v[44:45], v[32:33], off
	s_or_b64 exec, exec, s[12:13]
	s_and_saveexec_b64 s[12:13], s[6:7]
	s_cbranch_execz .LBB0_59
.LBB0_72:                               ;   in Loop: Header=BB0_24 Depth=1
	v_mov_b32_e32 v33, s23
	v_add_co_u32_e32 v32, vcc, s22, v22
	v_addc_co_u32_e32 v33, vcc, v21, v33, vcc
	global_store_dwordx2 v[32:33], v[36:37], off
	s_or_b64 exec, exec, s[12:13]
	s_and_saveexec_b64 s[12:13], s[8:9]
	s_cbranch_execz .LBB0_60
.LBB0_73:                               ;   in Loop: Header=BB0_24 Depth=1
	v_mov_b32_e32 v33, s23
	v_add_co_u32_e32 v32, vcc, s22, v16
	v_addc_co_u32_e32 v33, vcc, v15, v33, vcc
	global_store_dwordx2 v[32:33], v[40:41], off
	s_or_b64 exec, exec, s[12:13]
	s_and_saveexec_b64 s[12:13], s[10:11]
	s_cbranch_execnz .LBB0_61
	s_branch .LBB0_62
.LBB0_74:
	s_endpgm
	.section	.rodata,"a",@progbits
	.p2align	6, 0x0
	.amdhsa_kernel _ZN2at6native12_GLOBAL__N_125multi_tensor_apply_kernelINS1_32FusedOptimizerTensorListMetadataILi3EEENS1_23FusedAdagradMathFunctorIdEEJPKfddddbS8_S8_EEEvT_T0_DpT1_
		.amdhsa_group_segment_fixed_size 0
		.amdhsa_private_segment_fixed_size 0
		.amdhsa_kernarg_size 3856
		.amdhsa_user_sgpr_count 6
		.amdhsa_user_sgpr_private_segment_buffer 1
		.amdhsa_user_sgpr_dispatch_ptr 0
		.amdhsa_user_sgpr_queue_ptr 0
		.amdhsa_user_sgpr_kernarg_segment_ptr 1
		.amdhsa_user_sgpr_dispatch_id 0
		.amdhsa_user_sgpr_flat_scratch_init 0
		.amdhsa_user_sgpr_kernarg_preload_length 0
		.amdhsa_user_sgpr_kernarg_preload_offset 0
		.amdhsa_user_sgpr_private_segment_size 0
		.amdhsa_uses_dynamic_stack 0
		.amdhsa_system_sgpr_private_segment_wavefront_offset 0
		.amdhsa_system_sgpr_workgroup_id_x 1
		.amdhsa_system_sgpr_workgroup_id_y 0
		.amdhsa_system_sgpr_workgroup_id_z 0
		.amdhsa_system_sgpr_workgroup_info 0
		.amdhsa_system_vgpr_workitem_id 0
		.amdhsa_next_free_vgpr 72
		.amdhsa_next_free_sgpr 44
		.amdhsa_accum_offset 72
		.amdhsa_reserve_vcc 1
		.amdhsa_reserve_flat_scratch 0
		.amdhsa_float_round_mode_32 0
		.amdhsa_float_round_mode_16_64 0
		.amdhsa_float_denorm_mode_32 3
		.amdhsa_float_denorm_mode_16_64 3
		.amdhsa_dx10_clamp 1
		.amdhsa_ieee_mode 1
		.amdhsa_fp16_overflow 0
		.amdhsa_tg_split 0
		.amdhsa_exception_fp_ieee_invalid_op 0
		.amdhsa_exception_fp_denorm_src 0
		.amdhsa_exception_fp_ieee_div_zero 0
		.amdhsa_exception_fp_ieee_overflow 0
		.amdhsa_exception_fp_ieee_underflow 0
		.amdhsa_exception_fp_ieee_inexact 0
		.amdhsa_exception_int_div_zero 0
	.end_amdhsa_kernel
	.section	.text._ZN2at6native12_GLOBAL__N_125multi_tensor_apply_kernelINS1_32FusedOptimizerTensorListMetadataILi3EEENS1_23FusedAdagradMathFunctorIdEEJPKfddddbS8_S8_EEEvT_T0_DpT1_,"axG",@progbits,_ZN2at6native12_GLOBAL__N_125multi_tensor_apply_kernelINS1_32FusedOptimizerTensorListMetadataILi3EEENS1_23FusedAdagradMathFunctorIdEEJPKfddddbS8_S8_EEEvT_T0_DpT1_,comdat
.Lfunc_end0:
	.size	_ZN2at6native12_GLOBAL__N_125multi_tensor_apply_kernelINS1_32FusedOptimizerTensorListMetadataILi3EEENS1_23FusedAdagradMathFunctorIdEEJPKfddddbS8_S8_EEEvT_T0_DpT1_, .Lfunc_end0-_ZN2at6native12_GLOBAL__N_125multi_tensor_apply_kernelINS1_32FusedOptimizerTensorListMetadataILi3EEENS1_23FusedAdagradMathFunctorIdEEJPKfddddbS8_S8_EEEvT_T0_DpT1_
                                        ; -- End function
	.section	.AMDGPU.csdata,"",@progbits
; Kernel info:
; codeLenInByte = 5296
; NumSgprs: 48
; NumVgprs: 72
; NumAgprs: 0
; TotalNumVgprs: 72
; ScratchSize: 0
; MemoryBound: 1
; FloatMode: 240
; IeeeMode: 1
; LDSByteSize: 0 bytes/workgroup (compile time only)
; SGPRBlocks: 5
; VGPRBlocks: 8
; NumSGPRsForWavesPerEU: 48
; NumVGPRsForWavesPerEU: 72
; AccumOffset: 72
; Occupancy: 7
; WaveLimiterHint : 0
; COMPUTE_PGM_RSRC2:SCRATCH_EN: 0
; COMPUTE_PGM_RSRC2:USER_SGPR: 6
; COMPUTE_PGM_RSRC2:TRAP_HANDLER: 0
; COMPUTE_PGM_RSRC2:TGID_X_EN: 1
; COMPUTE_PGM_RSRC2:TGID_Y_EN: 0
; COMPUTE_PGM_RSRC2:TGID_Z_EN: 0
; COMPUTE_PGM_RSRC2:TIDIG_COMP_CNT: 0
; COMPUTE_PGM_RSRC3_GFX90A:ACCUM_OFFSET: 17
; COMPUTE_PGM_RSRC3_GFX90A:TG_SPLIT: 0
	.section	.text._ZN2at6native12_GLOBAL__N_125multi_tensor_apply_kernelINS1_32FusedOptimizerTensorListMetadataILi3EEENS1_23FusedAdagradMathFunctorIfEEJPKfddddbS8_S8_EEEvT_T0_DpT1_,"axG",@progbits,_ZN2at6native12_GLOBAL__N_125multi_tensor_apply_kernelINS1_32FusedOptimizerTensorListMetadataILi3EEENS1_23FusedAdagradMathFunctorIfEEJPKfddddbS8_S8_EEEvT_T0_DpT1_,comdat
	.globl	_ZN2at6native12_GLOBAL__N_125multi_tensor_apply_kernelINS1_32FusedOptimizerTensorListMetadataILi3EEENS1_23FusedAdagradMathFunctorIfEEJPKfddddbS8_S8_EEEvT_T0_DpT1_ ; -- Begin function _ZN2at6native12_GLOBAL__N_125multi_tensor_apply_kernelINS1_32FusedOptimizerTensorListMetadataILi3EEENS1_23FusedAdagradMathFunctorIfEEJPKfddddbS8_S8_EEEvT_T0_DpT1_
	.p2align	8
	.type	_ZN2at6native12_GLOBAL__N_125multi_tensor_apply_kernelINS1_32FusedOptimizerTensorListMetadataILi3EEENS1_23FusedAdagradMathFunctorIfEEJPKfddddbS8_S8_EEEvT_T0_DpT1_,@function
_ZN2at6native12_GLOBAL__N_125multi_tensor_apply_kernelINS1_32FusedOptimizerTensorListMetadataILi3EEENS1_23FusedAdagradMathFunctorIfEEJPKfddddbS8_S8_EEEvT_T0_DpT1_: ; @_ZN2at6native12_GLOBAL__N_125multi_tensor_apply_kernelINS1_32FusedOptimizerTensorListMetadataILi3EEENS1_23FusedAdagradMathFunctorIfEEJPKfddddbS8_S8_EEEvT_T0_DpT1_
; %bb.0:
	v_mov_b32_e32 v1, s6
	global_load_ubyte v1, v1, s[4:5] offset:1920
	s_load_dwordx8 s[8:15], s[4:5], 0xdd0
	s_add_u32 s0, s4, s6
	s_mul_hi_u32 s1, s6, 3
	s_mul_i32 s6, s6, 3
	s_addc_u32 s2, s5, 0
	s_add_u32 s0, s0, s6
	s_addc_u32 s1, s2, s1
	s_waitcnt lgkmcnt(0)
	s_cmp_eq_u64 s[8:9], 0
	v_pk_mov_b32 v[2:3], s[10:11], s[10:11] op_sel:[0,1]
	s_waitcnt vmcnt(0)
	v_readfirstlane_b32 s6, v1
	s_cbranch_scc1 .LBB1_2
; %bb.1:
	s_load_dword s2, s[8:9], 0x0
	s_waitcnt lgkmcnt(0)
	v_cvt_f64_f32_e32 v[2:3], s2
.LBB1_2:
	s_load_dwordx4 s[16:19], s[4:5], 0xe00
	s_waitcnt lgkmcnt(0)
	s_cmp_eq_u64 s[18:19], 0
	s_cselect_b64 s[2:3], -1, 0
	s_and_b64 vcc, exec, s[2:3]
	s_cbranch_vccnz .LBB1_4
; %bb.3:
	s_load_dword s2, s[18:19], 0x0
	s_waitcnt lgkmcnt(0)
	v_cmp_neq_f32_e64 s[2:3], s2, 1.0
.LBB1_4:
	s_andn2_b64 vcc, exec, s[2:3]
	s_cbranch_vccnz .LBB1_74
; %bb.5:
	s_load_dword s3, s[4:5], 0xdf8
	s_load_dword s2, s[0:1], 0x8c0
	s_waitcnt lgkmcnt(0)
	s_bitcmp1_b32 s3, 0
	s_cselect_b64 s[18:19], -1, 0
	s_and_b32 s0, s6, 0xff
	s_lshl_b32 s22, s0, 3
	s_load_dwordx2 s[0:1], s[4:5], s22 offset:0x600
	s_load_dwordx2 s[20:21], s[4:5], 0xdf0
	s_ashr_i32 s3, s2, 31
	s_lshl_b64 s[6:7], s[2:3], 16
	s_load_dwordx2 s[26:27], s[4:5], s22 offset:0x480
	s_waitcnt lgkmcnt(0)
	s_load_dword s23, s[0:1], 0x0
	s_load_dwordx2 s[8:9], s[4:5], s22 offset:0x0
	s_load_dwordx2 s[10:11], s[4:5], s22 offset:0x180
	;; [unrolled: 1-line block ×3, first 2 shown]
	s_sub_u32 s22, s26, s6
	s_waitcnt lgkmcnt(0)
	v_add_f32_e64 v1, s23, -1.0
	v_cvt_f64_f32_e32 v[4:5], v1
	s_subb_u32 s23, s27, s7
	s_lshl_b64 s[24:25], s[2:3], 18
	v_fma_f64 v[4:5], v[4:5], s[12:13], 1.0
	s_add_u32 s33, s8, s24
	v_div_scale_f64 v[6:7], s[0:1], v[4:5], v[4:5], v[2:3]
	s_addc_u32 s36, s9, s25
	s_and_b32 s2, s33, 15
	v_rcp_f64_e32 v[8:9], v[6:7]
	s_add_u32 s37, s10, s24
	s_addc_u32 s38, s11, s25
	s_add_u32 s39, s34, s24
	s_addc_u32 s40, s35, s25
	s_or_b32 s0, s39, s37
	v_fma_f64 v[12:13], -v[6:7], v[8:9], 1.0
	s_and_b32 s0, s0, 15
	v_fmac_f64_e32 v[8:9], v[8:9], v[12:13]
	s_cmp_lg_u32 s0, 0
	v_fma_f64 v[12:13], -v[6:7], v[8:9], 1.0
	s_cselect_b64 s[0:1], -1, 0
	s_and_b32 s3, s26, 3
	v_div_scale_f64 v[10:11], vcc, v[2:3], v[4:5], v[2:3]
	v_fmac_f64_e32 v[8:9], v[8:9], v[12:13]
	s_mov_b32 s13, 0
	s_or_b32 s12, s2, s3
	v_mul_f64 v[12:13], v[10:11], v[8:9]
	s_cmp_lg_u64 s[12:13], 0
	v_fma_f64 v[6:7], -v[6:7], v[12:13], v[10:11]
	s_cselect_b64 s[2:3], -1, 0
	v_div_fmas_f64 v[6:7], v[6:7], v[8:9], v[12:13]
	s_or_b64 s[0:1], s[0:1], s[2:3]
	v_div_fixup_f64 v[14:15], v[6:7], v[4:5], v[2:3]
	s_andn2_b64 vcc, exec, s[0:1]
	s_mov_b64 s[0:1], -1
	s_cbranch_vccz .LBB1_20
; %bb.6:
	v_mov_b32_e32 v17, 0
	v_lshlrev_b32_e32 v16, 2, v0
	v_cmp_gt_i64_e32 vcc, s[22:23], v[16:17]
	s_and_saveexec_b64 s[26:27], vcc
	s_cbranch_execz .LBB1_19
; %bb.7:
	s_load_dword s6, s[4:5], 0xe1c
	s_cmp_lg_u64 s[16:17], 0
	s_cselect_b64 s[2:3], -1, 0
	v_cndmask_b32_e64 v1, 0, 1, s[2:3]
	s_mov_b64 s[28:29], 0
	s_waitcnt lgkmcnt(0)
	s_and_b32 s6, s6, 0xffff
	v_add_lshl_u32 v16, v0, s6, 2
	v_cmp_neq_f64_e64 s[0:1], s[14:15], 0
	s_lshl_b32 s12, s6, 2
	v_lshlrev_b32_e32 v18, 4, v0
	s_lshl_b32 s41, s6, 4
	v_cmp_ne_u32_e64 s[2:3], 1, v1
	s_mov_b32 s42, 0xf800000
	v_mov_b32_e32 v1, 0x260
	s_mov_b64 s[30:31], 0xffff
	v_pk_mov_b32 v[20:21], v[16:17], v[16:17] op_sel:[0,1]
	s_branch .LBB1_9
.LBB1_8:                                ;   in Loop: Header=BB1_9 Depth=1
	v_cmp_le_i64_e32 vcc, s[22:23], v[20:21]
	v_cmp_lt_u64_e64 s[6:7], s[30:31], v[20:21]
	s_or_b64 s[6:7], vcc, s[6:7]
	s_add_u32 s33, s33, s41
	s_addc_u32 s36, s36, 0
	s_add_u32 s39, s39, s41
	s_addc_u32 s40, s40, 0
	;; [unrolled: 2-line block ×3, first 2 shown]
	v_mov_b32_e32 v2, s13
	s_and_b64 s[6:7], exec, s[6:7]
	v_add_co_u32_e32 v20, vcc, s12, v20
	s_or_b64 s[28:29], s[6:7], s[28:29]
	v_addc_co_u32_e32 v21, vcc, v21, v2, vcc
	global_store_dwordx4 v[26:27], v[6:9], off
	s_andn2_b64 exec, exec, s[28:29]
	s_cbranch_execz .LBB1_19
.LBB1_9:                                ; =>This Inner Loop Header: Depth=1
	v_mov_b32_e32 v2, s36
	v_add_co_u32_e32 v24, vcc, s33, v18
	v_addc_co_u32_e32 v25, vcc, 0, v2, vcc
	v_mov_b32_e32 v2, s38
	v_add_co_u32_e32 v22, vcc, s37, v18
	v_addc_co_u32_e32 v23, vcc, 0, v2, vcc
	;; [unrolled: 3-line block ×3, first 2 shown]
	global_load_dwordx4 v[10:13], v[24:25], off
	global_load_dwordx4 v[2:5], v[22:23], off
	;; [unrolled: 1-line block ×3, first 2 shown]
	s_and_b64 vcc, exec, s[2:3]
	s_cbranch_vccnz .LBB1_11
; %bb.10:                               ;   in Loop: Header=BB1_9 Depth=1
	global_load_dword v16, v17, s[16:17]
	s_waitcnt vmcnt(0)
	v_div_scale_f32 v19, s[6:7], v16, v16, v2
	v_rcp_f32_e32 v28, v19
	v_div_scale_f32 v29, vcc, v2, v16, v2
	v_fma_f32 v30, -v19, v28, 1.0
	v_fmac_f32_e32 v28, v30, v28
	v_mul_f32_e32 v30, v29, v28
	v_fma_f32 v31, -v19, v30, v29
	v_fmac_f32_e32 v30, v31, v28
	v_fma_f32 v19, -v19, v30, v29
	v_div_fmas_f32 v19, v19, v28, v30
	v_div_fixup_f32 v2, v19, v16, v2
.LBB1_11:                               ;   in Loop: Header=BB1_9 Depth=1
	s_and_b64 vcc, exec, s[2:3]
	s_cbranch_vccnz .LBB1_13
; %bb.12:                               ;   in Loop: Header=BB1_9 Depth=1
	global_load_dword v16, v17, s[16:17]
	s_waitcnt vmcnt(0)
	v_div_scale_f32 v19, s[6:7], v16, v16, v3
	v_rcp_f32_e32 v28, v19
	v_div_scale_f32 v29, vcc, v3, v16, v3
	v_fma_f32 v30, -v19, v28, 1.0
	v_fmac_f32_e32 v28, v30, v28
	v_mul_f32_e32 v30, v29, v28
	v_fma_f32 v31, -v19, v30, v29
	v_fmac_f32_e32 v30, v31, v28
	v_fma_f32 v19, -v19, v30, v29
	v_div_fmas_f32 v19, v19, v28, v30
	v_div_fixup_f32 v3, v19, v16, v3
.LBB1_13:                               ;   in Loop: Header=BB1_9 Depth=1
	;; [unrolled: 17-line block ×4, first 2 shown]
	s_waitcnt vmcnt(1)
	v_cndmask_b32_e64 v16, v4, -v4, s[18:19]
	v_cvt_f64_f32_e32 v[28:29], v12
	v_cvt_f64_f32_e32 v[30:31], v16
	v_fmac_f64_e32 v[30:31], s[14:15], v[28:29]
	v_cvt_f32_f64_e32 v12, v[30:31]
	v_cndmask_b32_e64 v12, v16, v12, s[0:1]
	s_waitcnt vmcnt(0)
	v_fma_f32 v8, v12, v12, v8
	v_mul_f32_e32 v16, 0x4f800000, v8
	v_cmp_gt_f32_e32 vcc, s42, v8
	v_cndmask_b32_e32 v16, v8, v16, vcc
	v_sqrt_f32_e32 v19, v16
	v_cvt_f64_f32_e32 v[30:31], v12
	v_mul_f64 v[30:31], v[14:15], v[30:31]
	v_add_u32_e32 v12, -1, v19
	v_fma_f32 v32, -v12, v19, v16
	v_cmp_ge_f32_e64 s[6:7], 0, v32
	v_add_u32_e32 v32, 1, v19
	v_cndmask_b32_e64 v12, v19, v12, s[6:7]
	v_fma_f32 v19, -v32, v19, v16
	v_cmp_lt_f32_e64 s[6:7], 0, v19
	v_cndmask_b32_e64 v12, v12, v32, s[6:7]
	v_mul_f32_e32 v19, 0x37800000, v12
	v_cndmask_b32_e32 v12, v12, v19, vcc
	v_cmp_class_f32_e32 vcc, v16, v1
	v_cndmask_b32_e32 v12, v12, v16, vcc
	v_cvt_f64_f32_e32 v[32:33], v12
	v_add_f64 v[32:33], v[32:33], s[20:21]
	v_div_scale_f64 v[34:35], s[6:7], v[32:33], v[32:33], v[30:31]
	v_rcp_f64_e32 v[36:37], v[34:35]
	v_cndmask_b32_e64 v12, v3, -v3, s[18:19]
	v_cvt_f64_f32_e32 v[42:43], v12
	v_fma_f64 v[38:39], -v[34:35], v[36:37], 1.0
	v_fmac_f64_e32 v[36:37], v[36:37], v[38:39]
	v_fma_f64 v[38:39], -v[34:35], v[36:37], 1.0
	v_fmac_f64_e32 v[36:37], v[36:37], v[38:39]
	v_div_scale_f64 v[38:39], vcc, v[30:31], v[32:33], v[30:31]
	v_mul_f64 v[40:41], v[38:39], v[36:37]
	v_fma_f64 v[34:35], -v[34:35], v[40:41], v[38:39]
	v_cvt_f64_f32_e32 v[38:39], v11
	v_fmac_f64_e32 v[42:43], s[14:15], v[38:39]
	v_cvt_f32_f64_e32 v11, v[42:43]
	v_cndmask_b32_e64 v11, v12, v11, s[0:1]
	v_fma_f32 v7, v11, v11, v7
	v_mul_f32_e32 v12, 0x4f800000, v7
	v_cmp_gt_f32_e64 s[6:7], s42, v7
	v_cndmask_b32_e64 v12, v7, v12, s[6:7]
	v_sqrt_f32_e32 v16, v12
	v_div_fmas_f64 v[34:35], v[34:35], v[36:37], v[40:41]
	v_cvt_f64_f32_e32 v[36:37], v11
	v_mul_f64 v[36:37], v[14:15], v[36:37]
	v_add_u32_e32 v11, -1, v16
	v_fma_f32 v19, -v11, v16, v12
	v_cmp_ge_f32_e32 vcc, 0, v19
	v_add_u32_e32 v19, 1, v16
	v_cndmask_b32_e32 v11, v16, v11, vcc
	v_fma_f32 v16, -v19, v16, v12
	v_cmp_lt_f32_e32 vcc, 0, v16
	v_cndmask_b32_e32 v11, v11, v19, vcc
	v_mul_f32_e32 v16, 0x37800000, v11
	v_cndmask_b32_e64 v11, v11, v16, s[6:7]
	v_cmp_class_f32_e32 vcc, v12, v1
	v_cndmask_b32_e32 v11, v11, v12, vcc
	v_cvt_f64_f32_e32 v[40:41], v11
	v_add_f64 v[40:41], v[40:41], s[20:21]
	v_cndmask_b32_e64 v16, v2, -v2, s[18:19]
	v_div_scale_f64 v[42:43], s[6:7], v[40:41], v[40:41], v[36:37]
	v_div_fixup_f64 v[30:31], v[34:35], v[32:33], v[30:31]
	v_cvt_f64_f32_e32 v[32:33], v10
	v_cvt_f64_f32_e32 v[10:11], v16
	v_rcp_f64_e32 v[44:45], v[42:43]
	v_fmac_f64_e32 v[10:11], s[14:15], v[32:33]
	v_cvt_f32_f64_e32 v10, v[10:11]
	v_cndmask_b32_e64 v16, v16, v10, s[0:1]
	v_add_f64 v[28:29], v[28:29], -v[30:31]
	v_fma_f32 v6, v16, v16, v6
	v_cvt_f32_f64_e32 v12, v[28:29]
	v_fma_f64 v[28:29], -v[42:43], v[44:45], 1.0
	v_mul_f32_e32 v10, 0x4f800000, v6
	v_cmp_gt_f32_e64 s[6:7], s42, v6
	v_fmac_f64_e32 v[44:45], v[44:45], v[28:29]
	v_cndmask_b32_e64 v19, v6, v10, s[6:7]
	v_fma_f64 v[28:29], -v[42:43], v[44:45], 1.0
	v_sqrt_f32_e32 v34, v19
	v_fmac_f64_e32 v[44:45], v[44:45], v[28:29]
	v_div_scale_f64 v[28:29], vcc, v[36:37], v[40:41], v[36:37]
	v_mul_f64 v[30:31], v[28:29], v[44:45]
	v_fma_f64 v[28:29], -v[42:43], v[30:31], v[28:29]
	s_nop 1
	v_div_fmas_f64 v[10:11], v[28:29], v[44:45], v[30:31]
	v_cvt_f64_f32_e32 v[28:29], v16
	v_add_u32_e32 v16, -1, v34
	v_fma_f32 v30, -v16, v34, v19
	v_cmp_ge_f32_e32 vcc, 0, v30
	v_add_u32_e32 v30, 1, v34
	v_fma_f32 v31, -v30, v34, v19
	v_cndmask_b32_e32 v16, v34, v16, vcc
	v_cmp_lt_f32_e32 vcc, 0, v31
	v_cndmask_b32_e32 v16, v16, v30, vcc
	v_mul_f32_e32 v30, 0x37800000, v16
	v_cndmask_b32_e64 v16, v16, v30, s[6:7]
	v_cmp_class_f32_e32 vcc, v19, v1
	v_cndmask_b32_e32 v16, v16, v19, vcc
	v_cvt_f64_f32_e32 v[30:31], v16
	v_mul_f64 v[28:29], v[14:15], v[28:29]
	v_add_f64 v[30:31], v[30:31], s[20:21]
	v_div_scale_f64 v[34:35], s[6:7], v[30:31], v[30:31], v[28:29]
	v_rcp_f64_e32 v[42:43], v[34:35]
	v_div_fixup_f64 v[10:11], v[10:11], v[40:41], v[36:37]
	v_add_f64 v[10:11], v[38:39], -v[10:11]
	v_cvt_f32_f64_e32 v11, v[10:11]
	v_fma_f64 v[36:37], -v[34:35], v[42:43], 1.0
	v_fmac_f64_e32 v[42:43], v[42:43], v[36:37]
	v_fma_f64 v[36:37], -v[34:35], v[42:43], 1.0
	v_fmac_f64_e32 v[42:43], v[42:43], v[36:37]
	v_div_scale_f64 v[36:37], vcc, v[28:29], v[30:31], v[28:29]
	v_mul_f64 v[38:39], v[36:37], v[42:43]
	v_cndmask_b32_e64 v10, v5, -v5, s[18:19]
	v_fma_f64 v[34:35], -v[34:35], v[38:39], v[36:37]
	v_cvt_f64_f32_e32 v[36:37], v13
	v_cvt_f64_f32_e32 v[40:41], v10
	v_fmac_f64_e32 v[40:41], s[14:15], v[36:37]
	v_cvt_f32_f64_e32 v13, v[40:41]
	v_cndmask_b32_e64 v10, v10, v13, s[0:1]
	v_fmac_f32_e32 v9, v10, v10
	v_mul_f32_e32 v13, 0x4f800000, v9
	v_cmp_gt_f32_e64 s[6:7], s42, v9
	v_cndmask_b32_e64 v13, v9, v13, s[6:7]
	v_sqrt_f32_e32 v16, v13
	v_div_fmas_f64 v[34:35], v[34:35], v[42:43], v[38:39]
	v_cvt_f64_f32_e32 v[38:39], v10
	v_mul_f64 v[38:39], v[14:15], v[38:39]
	v_add_u32_e32 v10, -1, v16
	v_fma_f32 v19, -v10, v16, v13
	v_cmp_ge_f32_e32 vcc, 0, v19
	v_add_u32_e32 v19, 1, v16
	v_cndmask_b32_e32 v10, v16, v10, vcc
	v_fma_f32 v16, -v19, v16, v13
	v_cmp_lt_f32_e32 vcc, 0, v16
	v_cndmask_b32_e32 v10, v10, v19, vcc
	v_mul_f32_e32 v16, 0x37800000, v10
	v_cndmask_b32_e64 v10, v10, v16, s[6:7]
	v_cmp_class_f32_e32 vcc, v13, v1
	v_cndmask_b32_e32 v10, v10, v13, vcc
	v_cvt_f64_f32_e32 v[40:41], v10
	v_add_f64 v[40:41], v[40:41], s[20:21]
	v_div_scale_f64 v[42:43], s[6:7], v[40:41], v[40:41], v[38:39]
	v_rcp_f64_e32 v[44:45], v[42:43]
	v_div_fixup_f64 v[28:29], v[34:35], v[30:31], v[28:29]
	v_add_f64 v[28:29], v[32:33], -v[28:29]
	v_cvt_f32_f64_e32 v10, v[28:29]
	v_fma_f64 v[28:29], -v[42:43], v[44:45], 1.0
	v_fmac_f64_e32 v[44:45], v[44:45], v[28:29]
	v_fma_f64 v[28:29], -v[42:43], v[44:45], 1.0
	v_fmac_f64_e32 v[44:45], v[44:45], v[28:29]
	v_div_scale_f64 v[28:29], vcc, v[38:39], v[40:41], v[38:39]
	v_mul_f64 v[30:31], v[28:29], v[44:45]
	v_fma_f64 v[28:29], -v[42:43], v[30:31], v[28:29]
	s_nop 1
	v_div_fmas_f64 v[28:29], v[28:29], v[44:45], v[30:31]
	v_div_fixup_f64 v[28:29], v[28:29], v[40:41], v[38:39]
	v_add_f64 v[28:29], v[36:37], -v[28:29]
	v_cvt_f32_f64_e32 v13, v[28:29]
	s_and_b64 vcc, exec, s[2:3]
	global_store_dwordx4 v[24:25], v[10:13], off
	s_cbranch_vccnz .LBB1_8
; %bb.18:                               ;   in Loop: Header=BB1_9 Depth=1
	global_store_dwordx4 v[22:23], v[2:5], off
	s_branch .LBB1_8
.LBB1_19:
	s_or_b64 exec, exec, s[26:27]
	s_mov_b64 s[0:1], 0
.LBB1_20:
	s_andn2_b64 vcc, exec, s[0:1]
	s_cbranch_vccnz .LBB1_74
; %bb.21:
	v_cmp_lt_i64_e64 s[0:1], s[22:23], 1
	s_and_b64 vcc, exec, s[0:1]
	s_cbranch_vccnz .LBB1_74
; %bb.22:
	s_load_dword s0, s[4:5], 0xe1c
	v_mov_b32_e32 v4, 0x10000
	v_mov_b32_e32 v5, 0
	v_cmp_lt_u64_e32 vcc, s[22:23], v[4:5]
	v_lshlrev_b32_e32 v2, 2, v0
	s_waitcnt lgkmcnt(0)
	s_and_b32 s4, s0, 0xffff
	s_and_b64 s[0:1], vcc, exec
	v_mov_b32_e32 v23, s9
	v_add_co_u32_e32 v4, vcc, s8, v2
	v_addc_co_u32_e32 v1, vcc, 0, v23, vcc
	v_mov_b32_e32 v25, s11
	v_add_co_u32_e32 v6, vcc, s10, v2
	v_addc_co_u32_e32 v5, vcc, 0, v25, vcc
	v_mov_b32_e32 v3, 0
	v_mov_b32_e32 v27, s35
	v_add_co_u32_e32 v8, vcc, s34, v2
	v_addc_co_u32_e32 v7, vcc, 0, v27, vcc
	v_mad_u64_u32 v[16:17], s[2:3], s4, 12, v[2:3]
	v_add_co_u32_e32 v10, vcc, s8, v16
	v_addc_co_u32_e32 v9, vcc, v23, v17, vcc
	v_add_co_u32_e32 v12, vcc, s10, v16
	v_addc_co_u32_e32 v11, vcc, v25, v17, vcc
	v_add_co_u32_e32 v16, vcc, s34, v16
	s_mul_i32 s6, s4, 3
	v_addc_co_u32_e32 v13, vcc, v27, v17, vcc
	s_cselect_b32 s27, s23, 0
	s_cselect_b32 s26, s22, 0x10000
	s_lshl_b32 s5, s4, 1
	v_add_co_u32_e32 v30, vcc, s6, v0
	s_cmp_lg_u64 s[16:17], 0
	v_addc_co_u32_e64 v31, s[2:3], 0, 0, vcc
	s_cselect_b64 s[30:31], -1, 0
	s_lshl_b32 s2, s4, 3
	v_add_co_u32_e32 v20, vcc, s2, v2
	v_addc_co_u32_e64 v21, s[2:3], 0, 0, vcc
	v_add_co_u32_e32 v2, vcc, s8, v20
	v_addc_co_u32_e32 v17, vcc, v23, v21, vcc
	v_add_co_u32_e32 v18, vcc, s10, v20
	v_addc_co_u32_e32 v19, vcc, v25, v21, vcc
	;; [unrolled: 2-line block ×3, first 2 shown]
	v_add_co_u32_e32 v32, vcc, s5, v0
	v_addc_co_u32_e64 v33, s[2:3], 0, 0, vcc
	v_add_co_u32_e32 v34, vcc, s4, v0
	v_lshlrev_b32_e32 v26, 2, v34
	v_addc_co_u32_e64 v35, s[2:3], 0, 0, vcc
	v_add_co_u32_e32 v22, vcc, s8, v26
	v_addc_co_u32_e32 v23, vcc, 0, v23, vcc
	v_add_co_u32_e32 v24, vcc, s10, v26
	v_addc_co_u32_e32 v25, vcc, 0, v25, vcc
	v_add_co_u32_e32 v26, vcc, s34, v26
	s_mov_b32 s33, 0
	s_mov_b64 s[28:29], 0
	s_lshl_b32 s36, s4, 2
	v_cmp_neq_f64_e64 s[0:1], s[14:15], 0
	s_lshl_b32 s37, s4, 4
	v_addc_co_u32_e32 v27, vcc, 0, v27, vcc
	s_mov_b32 s38, 0xf800000
	v_mov_b32_e32 v36, 0x260
	s_branch .LBB1_24
.LBB1_23:                               ;   in Loop: Header=BB1_24 Depth=1
	s_or_b64 exec, exec, s[2:3]
	s_add_u32 s28, s28, s36
	s_addc_u32 s29, s29, 0
	v_pk_mov_b32 v[28:29], s[22:23], s[22:23] op_sel:[0,1]
	v_cmp_ge_i64_e32 vcc, s[28:29], v[28:29]
	v_mov_b32_e32 v28, 0xffff
	v_mov_b32_e32 v29, 0
	v_cmp_gt_u64_e64 s[2:3], s[28:29], v[28:29]
	s_or_b64 s[2:3], vcc, s[2:3]
	v_mov_b32_e32 v28, s33
	v_add_co_u32_e32 v4, vcc, s37, v4
	v_addc_co_u32_e32 v1, vcc, v1, v28, vcc
	v_add_co_u32_e32 v6, vcc, s37, v6
	v_addc_co_u32_e32 v5, vcc, v5, v28, vcc
	;; [unrolled: 2-line block ×12, first 2 shown]
	s_and_b64 vcc, exec, s[2:3]
	s_cbranch_vccnz .LBB1_74
.LBB1_24:                               ; =>This Inner Loop Header: Depth=1
	v_mov_b32_e32 v29, s29
	v_add_co_u32_e32 v28, vcc, s28, v0
	v_addc_co_u32_e32 v29, vcc, 0, v29, vcc
	v_cmp_gt_u64_e64 s[2:3], s[26:27], v[28:29]
	v_mov_b32_e32 v28, 0
	v_mov_b32_e32 v38, 0
	s_and_saveexec_b64 s[4:5], s[2:3]
	s_cbranch_execz .LBB1_26
; %bb.25:                               ;   in Loop: Header=BB1_24 Depth=1
	v_mov_b32_e32 v28, s25
	v_add_co_u32_e32 v40, vcc, s24, v6
	v_addc_co_u32_e32 v41, vcc, v5, v28, vcc
	v_add_co_u32_e32 v42, vcc, s24, v4
	v_addc_co_u32_e32 v43, vcc, v1, v28, vcc
	global_load_dword v28, v[42:43], off
	global_load_dword v38, v[40:41], off
.LBB1_26:                               ;   in Loop: Header=BB1_24 Depth=1
	s_or_b64 exec, exec, s[4:5]
	v_mov_b32_e32 v47, 0
	v_mov_b32_e32 v37, 0
	s_and_saveexec_b64 s[4:5], s[2:3]
	s_cbranch_execz .LBB1_28
; %bb.27:                               ;   in Loop: Header=BB1_24 Depth=1
	v_mov_b32_e32 v29, s25
	v_add_co_u32_e32 v40, vcc, s24, v8
	v_addc_co_u32_e32 v41, vcc, v7, v29, vcc
	global_load_dword v37, v[40:41], off
.LBB1_28:                               ;   in Loop: Header=BB1_24 Depth=1
	s_or_b64 exec, exec, s[4:5]
	v_mov_b32_e32 v29, s29
	v_add_co_u32_e32 v40, vcc, s28, v34
	v_addc_co_u32_e32 v41, vcc, v35, v29, vcc
	v_cmp_gt_u64_e64 s[4:5], s[26:27], v[40:41]
	v_mov_b32_e32 v40, 0
	s_and_saveexec_b64 s[6:7], s[4:5]
	s_cbranch_execz .LBB1_30
; %bb.29:                               ;   in Loop: Header=BB1_24 Depth=1
	v_mov_b32_e32 v29, s25
	v_add_co_u32_e32 v42, vcc, s24, v24
	v_addc_co_u32_e32 v43, vcc, v25, v29, vcc
	v_add_co_u32_e32 v44, vcc, s24, v22
	v_addc_co_u32_e32 v45, vcc, v23, v29, vcc
	global_load_dword v47, v[44:45], off
	global_load_dword v40, v[42:43], off
.LBB1_30:                               ;   in Loop: Header=BB1_24 Depth=1
	s_or_b64 exec, exec, s[6:7]
	v_mov_b32_e32 v46, 0
	v_mov_b32_e32 v39, 0
	s_and_saveexec_b64 s[6:7], s[4:5]
	s_cbranch_execz .LBB1_32
; %bb.31:                               ;   in Loop: Header=BB1_24 Depth=1
	v_mov_b32_e32 v29, s25
	v_add_co_u32_e32 v42, vcc, s24, v26
	v_addc_co_u32_e32 v43, vcc, v27, v29, vcc
	global_load_dword v39, v[42:43], off
.LBB1_32:                               ;   in Loop: Header=BB1_24 Depth=1
	s_or_b64 exec, exec, s[6:7]
	v_mov_b32_e32 v29, s29
	v_add_co_u32_e32 v42, vcc, s28, v32
	v_addc_co_u32_e32 v43, vcc, v33, v29, vcc
	v_cmp_gt_u64_e64 s[6:7], s[26:27], v[42:43]
	;; [unrolled: 28-line block ×3, first 2 shown]
	v_mov_b32_e32 v44, 0
	s_and_saveexec_b64 s[10:11], s[8:9]
	s_cbranch_execz .LBB1_38
; %bb.37:                               ;   in Loop: Header=BB1_24 Depth=1
	v_mov_b32_e32 v29, s25
	v_add_co_u32_e32 v48, vcc, s24, v12
	v_addc_co_u32_e32 v49, vcc, v11, v29, vcc
	v_add_co_u32_e32 v50, vcc, s24, v10
	v_addc_co_u32_e32 v51, vcc, v9, v29, vcc
	global_load_dword v45, v[50:51], off
	global_load_dword v44, v[48:49], off
.LBB1_38:                               ;   in Loop: Header=BB1_24 Depth=1
	s_or_b64 exec, exec, s[10:11]
	v_mov_b32_e32 v43, 0
	s_and_saveexec_b64 s[10:11], s[8:9]
	s_cbranch_execz .LBB1_40
; %bb.39:                               ;   in Loop: Header=BB1_24 Depth=1
	v_mov_b32_e32 v29, s25
	v_add_co_u32_e32 v48, vcc, s24, v16
	v_addc_co_u32_e32 v49, vcc, v13, v29, vcc
	global_load_dword v43, v[48:49], off
.LBB1_40:                               ;   in Loop: Header=BB1_24 Depth=1
	s_or_b64 exec, exec, s[10:11]
	v_cndmask_b32_e64 v29, 0, 1, s[30:31]
	v_cmp_ne_u32_e64 s[10:11], 1, v29
	s_andn2_b64 vcc, exec, s[30:31]
	s_cbranch_vccnz .LBB1_42
; %bb.41:                               ;   in Loop: Header=BB1_24 Depth=1
	global_load_dword v29, v3, s[16:17]
	s_waitcnt vmcnt(0)
	v_div_scale_f32 v48, s[12:13], v29, v29, v38
	v_rcp_f32_e32 v49, v48
	v_div_scale_f32 v50, vcc, v38, v29, v38
	v_fma_f32 v51, -v48, v49, 1.0
	v_fmac_f32_e32 v49, v51, v49
	v_mul_f32_e32 v51, v50, v49
	v_fma_f32 v52, -v48, v51, v50
	v_fmac_f32_e32 v51, v52, v49
	v_fma_f32 v48, -v48, v51, v50
	v_div_fmas_f32 v48, v48, v49, v51
	v_div_fixup_f32 v38, v48, v29, v38
.LBB1_42:                               ;   in Loop: Header=BB1_24 Depth=1
	s_and_b64 vcc, exec, s[10:11]
	s_cbranch_vccnz .LBB1_44
; %bb.43:                               ;   in Loop: Header=BB1_24 Depth=1
	global_load_dword v29, v3, s[16:17]
	s_waitcnt vmcnt(0)
	v_div_scale_f32 v48, s[12:13], v29, v29, v40
	v_rcp_f32_e32 v49, v48
	v_div_scale_f32 v50, vcc, v40, v29, v40
	v_fma_f32 v51, -v48, v49, 1.0
	v_fmac_f32_e32 v49, v51, v49
	v_mul_f32_e32 v51, v50, v49
	v_fma_f32 v52, -v48, v51, v50
	v_fmac_f32_e32 v51, v52, v49
	v_fma_f32 v48, -v48, v51, v50
	v_div_fmas_f32 v48, v48, v49, v51
	v_div_fixup_f32 v40, v48, v29, v40
.LBB1_44:                               ;   in Loop: Header=BB1_24 Depth=1
	s_and_b64 vcc, exec, s[10:11]
	;; [unrolled: 17-line block ×3, first 2 shown]
	s_cbranch_vccnz .LBB1_48
; %bb.47:                               ;   in Loop: Header=BB1_24 Depth=1
	global_load_dword v29, v3, s[16:17]
	s_waitcnt vmcnt(0)
	v_div_scale_f32 v48, s[12:13], v29, v29, v44
	v_rcp_f32_e32 v49, v48
	v_div_scale_f32 v50, vcc, v44, v29, v44
	v_fma_f32 v51, -v48, v49, 1.0
	v_fmac_f32_e32 v49, v51, v49
	v_mul_f32_e32 v51, v50, v49
	v_fma_f32 v52, -v48, v51, v50
	v_fmac_f32_e32 v51, v52, v49
	v_fma_f32 v48, -v48, v51, v50
	v_div_fmas_f32 v48, v48, v49, v51
	v_div_fixup_f32 v44, v48, v29, v44
.LBB1_48:                               ;   in Loop: Header=BB1_24 Depth=1
	s_waitcnt vmcnt(0)
	v_cndmask_b32_e64 v50, v38, -v38, s[18:19]
	v_cvt_f64_f32_e32 v[28:29], v28
	v_cvt_f64_f32_e32 v[48:49], v50
	v_fmac_f64_e32 v[48:49], s[14:15], v[28:29]
	v_cvt_f32_f64_e32 v48, v[48:49]
	v_cndmask_b32_e64 v48, v50, v48, s[0:1]
	v_fmac_f32_e32 v37, v48, v48
	s_and_saveexec_b64 s[34:35], s[2:3]
	s_cbranch_execz .LBB1_50
; %bb.49:                               ;   in Loop: Header=BB1_24 Depth=1
	v_mul_f32_e32 v49, 0x4f800000, v37
	v_cmp_gt_f32_e32 vcc, s38, v37
	v_cndmask_b32_e32 v50, v37, v49, vcc
	v_sqrt_f32_e32 v51, v50
	v_cvt_f64_f32_e32 v[48:49], v48
	v_mul_f64 v[48:49], v[14:15], v[48:49]
	v_add_u32_e32 v52, -1, v51
	v_fma_f32 v53, -v52, v51, v50
	v_cmp_ge_f32_e64 s[12:13], 0, v53
	v_add_u32_e32 v53, 1, v51
	v_cndmask_b32_e64 v52, v51, v52, s[12:13]
	v_fma_f32 v51, -v53, v51, v50
	v_cmp_lt_f32_e64 s[12:13], 0, v51
	v_cndmask_b32_e64 v51, v52, v53, s[12:13]
	v_mul_f32_e32 v52, 0x37800000, v51
	v_cndmask_b32_e32 v51, v51, v52, vcc
	v_cmp_class_f32_e32 vcc, v50, v36
	v_cndmask_b32_e32 v50, v51, v50, vcc
	v_cvt_f64_f32_e32 v[50:51], v50
	v_add_f64 v[50:51], v[50:51], s[20:21]
	v_div_scale_f64 v[52:53], s[12:13], v[50:51], v[50:51], v[48:49]
	v_rcp_f64_e32 v[54:55], v[52:53]
	v_fma_f64 v[56:57], -v[52:53], v[54:55], 1.0
	v_fmac_f64_e32 v[54:55], v[54:55], v[56:57]
	v_fma_f64 v[56:57], -v[52:53], v[54:55], 1.0
	v_fmac_f64_e32 v[54:55], v[54:55], v[56:57]
	v_div_scale_f64 v[56:57], vcc, v[48:49], v[50:51], v[48:49]
	v_mul_f64 v[58:59], v[56:57], v[54:55]
	v_fma_f64 v[52:53], -v[52:53], v[58:59], v[56:57]
	s_nop 1
	v_div_fmas_f64 v[52:53], v[52:53], v[54:55], v[58:59]
	v_div_fixup_f64 v[48:49], v[52:53], v[50:51], v[48:49]
	v_add_f64 v[28:29], v[28:29], -v[48:49]
	v_cvt_f32_f64_e32 v48, v[28:29]
	v_mov_b32_e32 v29, s25
	v_add_co_u32_e32 v28, vcc, s24, v4
	v_addc_co_u32_e32 v29, vcc, v1, v29, vcc
	global_store_dword v[28:29], v48, off
.LBB1_50:                               ;   in Loop: Header=BB1_24 Depth=1
	s_or_b64 exec, exec, s[34:35]
	v_cndmask_b32_e64 v50, v40, -v40, s[18:19]
	v_cvt_f64_f32_e32 v[28:29], v47
	v_cvt_f64_f32_e32 v[48:49], v50
	v_fmac_f64_e32 v[48:49], s[14:15], v[28:29]
	v_cvt_f32_f64_e32 v47, v[48:49]
	v_cndmask_b32_e64 v47, v50, v47, s[0:1]
	v_fmac_f32_e32 v39, v47, v47
	s_and_saveexec_b64 s[34:35], s[4:5]
	s_cbranch_execz .LBB1_52
; %bb.51:                               ;   in Loop: Header=BB1_24 Depth=1
	v_mul_f32_e32 v48, 0x4f800000, v39
	v_cmp_gt_f32_e32 vcc, s38, v39
	v_cndmask_b32_e32 v50, v39, v48, vcc
	v_sqrt_f32_e32 v51, v50
	v_cvt_f64_f32_e32 v[48:49], v47
	v_mul_f64 v[48:49], v[14:15], v[48:49]
	v_add_u32_e32 v47, -1, v51
	v_fma_f32 v52, -v47, v51, v50
	v_cmp_ge_f32_e64 s[12:13], 0, v52
	v_add_u32_e32 v52, 1, v51
	v_cndmask_b32_e64 v47, v51, v47, s[12:13]
	v_fma_f32 v51, -v52, v51, v50
	v_cmp_lt_f32_e64 s[12:13], 0, v51
	v_cndmask_b32_e64 v47, v47, v52, s[12:13]
	v_mul_f32_e32 v51, 0x37800000, v47
	v_cndmask_b32_e32 v47, v47, v51, vcc
	v_cmp_class_f32_e32 vcc, v50, v36
	v_cndmask_b32_e32 v47, v47, v50, vcc
	v_cvt_f64_f32_e32 v[50:51], v47
	v_add_f64 v[50:51], v[50:51], s[20:21]
	v_div_scale_f64 v[52:53], s[12:13], v[50:51], v[50:51], v[48:49]
	v_rcp_f64_e32 v[54:55], v[52:53]
	v_fma_f64 v[56:57], -v[52:53], v[54:55], 1.0
	v_fmac_f64_e32 v[54:55], v[54:55], v[56:57]
	v_fma_f64 v[56:57], -v[52:53], v[54:55], 1.0
	v_fmac_f64_e32 v[54:55], v[54:55], v[56:57]
	v_div_scale_f64 v[56:57], vcc, v[48:49], v[50:51], v[48:49]
	v_mul_f64 v[58:59], v[56:57], v[54:55]
	v_fma_f64 v[52:53], -v[52:53], v[58:59], v[56:57]
	s_nop 1
	v_div_fmas_f64 v[52:53], v[52:53], v[54:55], v[58:59]
	v_div_fixup_f64 v[48:49], v[52:53], v[50:51], v[48:49]
	v_add_f64 v[28:29], v[28:29], -v[48:49]
	v_cvt_f32_f64_e32 v47, v[28:29]
	v_mov_b32_e32 v29, s25
	v_add_co_u32_e32 v28, vcc, s24, v22
	v_addc_co_u32_e32 v29, vcc, v23, v29, vcc
	global_store_dword v[28:29], v47, off
.LBB1_52:                               ;   in Loop: Header=BB1_24 Depth=1
	s_or_b64 exec, exec, s[34:35]
	;; [unrolled: 50-line block ×4, first 2 shown]
	s_and_b64 vcc, exec, s[10:11]
	s_cbranch_vccnz .LBB1_63
; %bb.57:                               ;   in Loop: Header=BB1_24 Depth=1
	s_and_saveexec_b64 s[10:11], s[2:3]
	s_cbranch_execnz .LBB1_71
; %bb.58:                               ;   in Loop: Header=BB1_24 Depth=1
	s_or_b64 exec, exec, s[10:11]
	s_and_saveexec_b64 s[10:11], s[4:5]
	s_cbranch_execnz .LBB1_72
.LBB1_59:                               ;   in Loop: Header=BB1_24 Depth=1
	s_or_b64 exec, exec, s[10:11]
	s_and_saveexec_b64 s[10:11], s[6:7]
	s_cbranch_execnz .LBB1_73
.LBB1_60:                               ;   in Loop: Header=BB1_24 Depth=1
	s_or_b64 exec, exec, s[10:11]
	s_and_saveexec_b64 s[10:11], s[8:9]
	s_cbranch_execz .LBB1_62
.LBB1_61:                               ;   in Loop: Header=BB1_24 Depth=1
	v_mov_b32_e32 v29, s25
	v_add_co_u32_e32 v28, vcc, s24, v12
	v_addc_co_u32_e32 v29, vcc, v11, v29, vcc
	global_store_dword v[28:29], v44, off
.LBB1_62:                               ;   in Loop: Header=BB1_24 Depth=1
	s_or_b64 exec, exec, s[10:11]
.LBB1_63:                               ;   in Loop: Header=BB1_24 Depth=1
	s_and_saveexec_b64 s[10:11], s[2:3]
	s_cbranch_execnz .LBB1_67
; %bb.64:                               ;   in Loop: Header=BB1_24 Depth=1
	s_or_b64 exec, exec, s[10:11]
	s_and_saveexec_b64 s[2:3], s[4:5]
	s_cbranch_execnz .LBB1_68
.LBB1_65:                               ;   in Loop: Header=BB1_24 Depth=1
	s_or_b64 exec, exec, s[2:3]
	s_and_saveexec_b64 s[2:3], s[6:7]
	s_cbranch_execnz .LBB1_69
.LBB1_66:                               ;   in Loop: Header=BB1_24 Depth=1
	s_or_b64 exec, exec, s[2:3]
	s_and_saveexec_b64 s[2:3], s[8:9]
	s_cbranch_execz .LBB1_23
	s_branch .LBB1_70
.LBB1_67:                               ;   in Loop: Header=BB1_24 Depth=1
	v_mov_b32_e32 v29, s25
	v_add_co_u32_e32 v28, vcc, s24, v8
	v_addc_co_u32_e32 v29, vcc, v7, v29, vcc
	global_store_dword v[28:29], v37, off
	s_or_b64 exec, exec, s[10:11]
	s_and_saveexec_b64 s[2:3], s[4:5]
	s_cbranch_execz .LBB1_65
.LBB1_68:                               ;   in Loop: Header=BB1_24 Depth=1
	v_mov_b32_e32 v29, s25
	v_add_co_u32_e32 v28, vcc, s24, v26
	v_addc_co_u32_e32 v29, vcc, v27, v29, vcc
	global_store_dword v[28:29], v39, off
	s_or_b64 exec, exec, s[2:3]
	s_and_saveexec_b64 s[2:3], s[6:7]
	s_cbranch_execz .LBB1_66
.LBB1_69:                               ;   in Loop: Header=BB1_24 Depth=1
	v_mov_b32_e32 v29, s25
	v_add_co_u32_e32 v28, vcc, s24, v20
	v_addc_co_u32_e32 v29, vcc, v21, v29, vcc
	global_store_dword v[28:29], v41, off
	s_or_b64 exec, exec, s[2:3]
	s_and_saveexec_b64 s[2:3], s[8:9]
	s_cbranch_execz .LBB1_23
.LBB1_70:                               ;   in Loop: Header=BB1_24 Depth=1
	v_mov_b32_e32 v29, s25
	v_add_co_u32_e32 v28, vcc, s24, v16
	v_addc_co_u32_e32 v29, vcc, v13, v29, vcc
	global_store_dword v[28:29], v43, off
	s_branch .LBB1_23
.LBB1_71:                               ;   in Loop: Header=BB1_24 Depth=1
	v_mov_b32_e32 v29, s25
	v_add_co_u32_e32 v28, vcc, s24, v6
	v_addc_co_u32_e32 v29, vcc, v5, v29, vcc
	global_store_dword v[28:29], v38, off
	s_or_b64 exec, exec, s[10:11]
	s_and_saveexec_b64 s[10:11], s[4:5]
	s_cbranch_execz .LBB1_59
.LBB1_72:                               ;   in Loop: Header=BB1_24 Depth=1
	v_mov_b32_e32 v29, s25
	v_add_co_u32_e32 v28, vcc, s24, v24
	v_addc_co_u32_e32 v29, vcc, v25, v29, vcc
	global_store_dword v[28:29], v40, off
	s_or_b64 exec, exec, s[10:11]
	s_and_saveexec_b64 s[10:11], s[6:7]
	s_cbranch_execz .LBB1_60
.LBB1_73:                               ;   in Loop: Header=BB1_24 Depth=1
	v_mov_b32_e32 v29, s25
	v_add_co_u32_e32 v28, vcc, s24, v18
	v_addc_co_u32_e32 v29, vcc, v19, v29, vcc
	global_store_dword v[28:29], v42, off
	s_or_b64 exec, exec, s[10:11]
	s_and_saveexec_b64 s[10:11], s[8:9]
	s_cbranch_execnz .LBB1_61
	s_branch .LBB1_62
.LBB1_74:
	s_endpgm
	.section	.rodata,"a",@progbits
	.p2align	6, 0x0
	.amdhsa_kernel _ZN2at6native12_GLOBAL__N_125multi_tensor_apply_kernelINS1_32FusedOptimizerTensorListMetadataILi3EEENS1_23FusedAdagradMathFunctorIfEEJPKfddddbS8_S8_EEEvT_T0_DpT1_
		.amdhsa_group_segment_fixed_size 0
		.amdhsa_private_segment_fixed_size 0
		.amdhsa_kernarg_size 3856
		.amdhsa_user_sgpr_count 6
		.amdhsa_user_sgpr_private_segment_buffer 1
		.amdhsa_user_sgpr_dispatch_ptr 0
		.amdhsa_user_sgpr_queue_ptr 0
		.amdhsa_user_sgpr_kernarg_segment_ptr 1
		.amdhsa_user_sgpr_dispatch_id 0
		.amdhsa_user_sgpr_flat_scratch_init 0
		.amdhsa_user_sgpr_kernarg_preload_length 0
		.amdhsa_user_sgpr_kernarg_preload_offset 0
		.amdhsa_user_sgpr_private_segment_size 0
		.amdhsa_uses_dynamic_stack 0
		.amdhsa_system_sgpr_private_segment_wavefront_offset 0
		.amdhsa_system_sgpr_workgroup_id_x 1
		.amdhsa_system_sgpr_workgroup_id_y 0
		.amdhsa_system_sgpr_workgroup_id_z 0
		.amdhsa_system_sgpr_workgroup_info 0
		.amdhsa_system_vgpr_workitem_id 0
		.amdhsa_next_free_vgpr 60
		.amdhsa_next_free_sgpr 43
		.amdhsa_accum_offset 60
		.amdhsa_reserve_vcc 1
		.amdhsa_reserve_flat_scratch 0
		.amdhsa_float_round_mode_32 0
		.amdhsa_float_round_mode_16_64 0
		.amdhsa_float_denorm_mode_32 3
		.amdhsa_float_denorm_mode_16_64 3
		.amdhsa_dx10_clamp 1
		.amdhsa_ieee_mode 1
		.amdhsa_fp16_overflow 0
		.amdhsa_tg_split 0
		.amdhsa_exception_fp_ieee_invalid_op 0
		.amdhsa_exception_fp_denorm_src 0
		.amdhsa_exception_fp_ieee_div_zero 0
		.amdhsa_exception_fp_ieee_overflow 0
		.amdhsa_exception_fp_ieee_underflow 0
		.amdhsa_exception_fp_ieee_inexact 0
		.amdhsa_exception_int_div_zero 0
	.end_amdhsa_kernel
	.section	.text._ZN2at6native12_GLOBAL__N_125multi_tensor_apply_kernelINS1_32FusedOptimizerTensorListMetadataILi3EEENS1_23FusedAdagradMathFunctorIfEEJPKfddddbS8_S8_EEEvT_T0_DpT1_,"axG",@progbits,_ZN2at6native12_GLOBAL__N_125multi_tensor_apply_kernelINS1_32FusedOptimizerTensorListMetadataILi3EEENS1_23FusedAdagradMathFunctorIfEEJPKfddddbS8_S8_EEEvT_T0_DpT1_,comdat
.Lfunc_end1:
	.size	_ZN2at6native12_GLOBAL__N_125multi_tensor_apply_kernelINS1_32FusedOptimizerTensorListMetadataILi3EEENS1_23FusedAdagradMathFunctorIfEEJPKfddddbS8_S8_EEEvT_T0_DpT1_, .Lfunc_end1-_ZN2at6native12_GLOBAL__N_125multi_tensor_apply_kernelINS1_32FusedOptimizerTensorListMetadataILi3EEENS1_23FusedAdagradMathFunctorIfEEJPKfddddbS8_S8_EEEvT_T0_DpT1_
                                        ; -- End function
	.section	.AMDGPU.csdata,"",@progbits
; Kernel info:
; codeLenInByte = 4884
; NumSgprs: 47
; NumVgprs: 60
; NumAgprs: 0
; TotalNumVgprs: 60
; ScratchSize: 0
; MemoryBound: 0
; FloatMode: 240
; IeeeMode: 1
; LDSByteSize: 0 bytes/workgroup (compile time only)
; SGPRBlocks: 5
; VGPRBlocks: 7
; NumSGPRsForWavesPerEU: 47
; NumVGPRsForWavesPerEU: 60
; AccumOffset: 60
; Occupancy: 8
; WaveLimiterHint : 0
; COMPUTE_PGM_RSRC2:SCRATCH_EN: 0
; COMPUTE_PGM_RSRC2:USER_SGPR: 6
; COMPUTE_PGM_RSRC2:TRAP_HANDLER: 0
; COMPUTE_PGM_RSRC2:TGID_X_EN: 1
; COMPUTE_PGM_RSRC2:TGID_Y_EN: 0
; COMPUTE_PGM_RSRC2:TGID_Z_EN: 0
; COMPUTE_PGM_RSRC2:TIDIG_COMP_CNT: 0
; COMPUTE_PGM_RSRC3_GFX90A:ACCUM_OFFSET: 14
; COMPUTE_PGM_RSRC3_GFX90A:TG_SPLIT: 0
	.section	.text._ZN2at6native12_GLOBAL__N_125multi_tensor_apply_kernelINS1_32FusedOptimizerTensorListMetadataILi3EEENS1_23FusedAdagradMathFunctorIN3c104HalfEEEJPKfddddbSA_SA_EEEvT_T0_DpT1_,"axG",@progbits,_ZN2at6native12_GLOBAL__N_125multi_tensor_apply_kernelINS1_32FusedOptimizerTensorListMetadataILi3EEENS1_23FusedAdagradMathFunctorIN3c104HalfEEEJPKfddddbSA_SA_EEEvT_T0_DpT1_,comdat
	.globl	_ZN2at6native12_GLOBAL__N_125multi_tensor_apply_kernelINS1_32FusedOptimizerTensorListMetadataILi3EEENS1_23FusedAdagradMathFunctorIN3c104HalfEEEJPKfddddbSA_SA_EEEvT_T0_DpT1_ ; -- Begin function _ZN2at6native12_GLOBAL__N_125multi_tensor_apply_kernelINS1_32FusedOptimizerTensorListMetadataILi3EEENS1_23FusedAdagradMathFunctorIN3c104HalfEEEJPKfddddbSA_SA_EEEvT_T0_DpT1_
	.p2align	8
	.type	_ZN2at6native12_GLOBAL__N_125multi_tensor_apply_kernelINS1_32FusedOptimizerTensorListMetadataILi3EEENS1_23FusedAdagradMathFunctorIN3c104HalfEEEJPKfddddbSA_SA_EEEvT_T0_DpT1_,@function
_ZN2at6native12_GLOBAL__N_125multi_tensor_apply_kernelINS1_32FusedOptimizerTensorListMetadataILi3EEENS1_23FusedAdagradMathFunctorIN3c104HalfEEEJPKfddddbSA_SA_EEEvT_T0_DpT1_: ; @_ZN2at6native12_GLOBAL__N_125multi_tensor_apply_kernelINS1_32FusedOptimizerTensorListMetadataILi3EEENS1_23FusedAdagradMathFunctorIN3c104HalfEEEJPKfddddbSA_SA_EEEvT_T0_DpT1_
; %bb.0:
	v_mov_b32_e32 v1, s6
	global_load_ubyte v1, v1, s[4:5] offset:1920
	s_load_dwordx8 s[8:15], s[4:5], 0xdd0
	s_add_u32 s0, s4, s6
	s_mul_hi_u32 s1, s6, 3
	s_mul_i32 s6, s6, 3
	s_addc_u32 s2, s5, 0
	s_add_u32 s0, s0, s6
	s_addc_u32 s1, s2, s1
	s_waitcnt lgkmcnt(0)
	s_cmp_eq_u64 s[8:9], 0
	v_pk_mov_b32 v[2:3], s[10:11], s[10:11] op_sel:[0,1]
	s_waitcnt vmcnt(0)
	v_readfirstlane_b32 s6, v1
	s_cbranch_scc1 .LBB2_2
; %bb.1:
	s_load_dword s2, s[8:9], 0x0
	s_waitcnt lgkmcnt(0)
	v_cvt_f64_f32_e32 v[2:3], s2
.LBB2_2:
	s_load_dwordx4 s[16:19], s[4:5], 0xe00
	s_waitcnt lgkmcnt(0)
	s_cmp_eq_u64 s[18:19], 0
	s_cselect_b64 s[2:3], -1, 0
	s_and_b64 vcc, exec, s[2:3]
	s_cbranch_vccnz .LBB2_4
; %bb.3:
	s_load_dword s2, s[18:19], 0x0
	s_waitcnt lgkmcnt(0)
	v_cmp_neq_f32_e64 s[2:3], s2, 1.0
.LBB2_4:
	s_andn2_b64 vcc, exec, s[2:3]
	s_cbranch_vccnz .LBB2_76
; %bb.5:
	s_load_dword s3, s[4:5], 0xdf8
	s_load_dword s2, s[0:1], 0x8c0
	s_waitcnt lgkmcnt(0)
	s_bitcmp1_b32 s3, 0
	s_cselect_b64 s[18:19], -1, 0
	s_and_b32 s0, s6, 0xff
	s_lshl_b32 s22, s0, 3
	s_load_dwordx2 s[0:1], s[4:5], s22 offset:0x600
	s_load_dwordx2 s[20:21], s[4:5], 0xdf0
	s_ashr_i32 s3, s2, 31
	s_lshl_b64 s[6:7], s[2:3], 16
	s_load_dwordx2 s[26:27], s[4:5], s22 offset:0x480
	s_waitcnt lgkmcnt(0)
	s_load_dword s23, s[0:1], 0x0
	s_load_dwordx2 s[8:9], s[4:5], s22 offset:0x0
	s_load_dwordx2 s[10:11], s[4:5], s22 offset:0x180
	;; [unrolled: 1-line block ×3, first 2 shown]
	s_sub_u32 s22, s26, s6
	s_waitcnt lgkmcnt(0)
	v_add_f32_e64 v1, s23, -1.0
	v_cvt_f64_f32_e32 v[4:5], v1
	s_subb_u32 s23, s27, s7
	s_lshl_b64 s[24:25], s[2:3], 17
	v_fma_f64 v[4:5], v[4:5], s[12:13], 1.0
	s_add_u32 s33, s8, s24
	v_div_scale_f64 v[6:7], s[0:1], v[4:5], v[4:5], v[2:3]
	s_addc_u32 s36, s9, s25
	s_and_b32 s2, s33, 7
	v_rcp_f64_e32 v[8:9], v[6:7]
	s_add_u32 s37, s10, s24
	s_addc_u32 s38, s11, s25
	s_add_u32 s39, s34, s24
	s_addc_u32 s40, s35, s25
	s_or_b32 s0, s39, s37
	v_fma_f64 v[12:13], -v[6:7], v[8:9], 1.0
	s_and_b32 s0, s0, 7
	v_fmac_f64_e32 v[8:9], v[8:9], v[12:13]
	s_cmp_lg_u32 s0, 0
	v_fma_f64 v[12:13], -v[6:7], v[8:9], 1.0
	s_cselect_b64 s[0:1], -1, 0
	s_and_b32 s3, s26, 3
	v_div_scale_f64 v[10:11], vcc, v[2:3], v[4:5], v[2:3]
	v_fmac_f64_e32 v[8:9], v[8:9], v[12:13]
	s_mov_b32 s13, 0
	s_or_b32 s12, s2, s3
	v_mul_f64 v[12:13], v[10:11], v[8:9]
	s_cmp_lg_u64 s[12:13], 0
	v_fma_f64 v[6:7], -v[6:7], v[12:13], v[10:11]
	s_cselect_b64 s[2:3], -1, 0
	v_div_fmas_f64 v[6:7], v[6:7], v[8:9], v[12:13]
	s_or_b64 s[0:1], s[0:1], s[2:3]
	v_div_fixup_f64 v[2:3], v[6:7], v[4:5], v[2:3]
	s_andn2_b64 vcc, exec, s[0:1]
	s_mov_b64 s[0:1], -1
	s_cbranch_vccz .LBB2_22
; %bb.6:
	v_mov_b32_e32 v5, 0
	v_lshlrev_b32_e32 v4, 2, v0
	v_cmp_gt_i64_e32 vcc, s[22:23], v[4:5]
	s_and_saveexec_b64 s[26:27], vcc
	s_cbranch_execz .LBB2_21
; %bb.7:
	s_load_dword s6, s[4:5], 0xe1c
	s_cmp_lg_u64 s[16:17], 0
	s_cselect_b64 s[2:3], -1, 0
	v_cndmask_b32_e64 v1, 0, 1, s[2:3]
	s_mov_b64 s[28:29], 0
	s_waitcnt lgkmcnt(0)
	s_and_b32 s6, s6, 0xffff
	v_add_lshl_u32 v4, v0, s6, 2
	v_cmp_neq_f64_e64 s[0:1], s[14:15], 0
	s_lshl_b32 s12, s6, 2
	v_lshlrev_b32_e32 v6, 3, v0
	s_lshl_b32 s41, s6, 3
	v_cmp_ne_u32_e64 s[2:3], 1, v1
	s_mov_b32 s42, 0xf800000
	v_mov_b32_e32 v1, 0x260
	s_mov_b32 s43, 0x5040100
	s_mov_b64 s[30:31], 0xffff
	v_pk_mov_b32 v[8:9], v[4:5], v[4:5] op_sel:[0,1]
	s_branch .LBB2_9
.LBB2_8:                                ;   in Loop: Header=BB2_9 Depth=1
	v_cmp_le_i64_e32 vcc, s[22:23], v[8:9]
	v_cmp_lt_u64_e64 s[6:7], s[30:31], v[8:9]
	s_or_b64 s[6:7], vcc, s[6:7]
	s_add_u32 s33, s33, s41
	s_addc_u32 s36, s36, 0
	v_cvt_f16_f32_e32 v4, v22
	v_cvt_f16_f32_e32 v10, v19
	s_add_u32 s39, s39, s41
	v_cvt_f16_f32_e32 v7, v23
	v_cvt_f16_f32_e32 v14, v18
	s_addc_u32 s40, s40, 0
	s_add_u32 s37, s37, s41
	s_addc_u32 s38, s38, 0
	v_pack_b32_f16 v11, v4, v10
	v_mov_b32_e32 v4, s13
	s_and_b64 s[6:7], exec, s[6:7]
	v_add_co_u32_e32 v8, vcc, s12, v8
	v_pack_b32_f16 v10, v14, v7
	s_or_b64 s[28:29], s[6:7], s[28:29]
	v_addc_co_u32_e32 v9, vcc, v9, v4, vcc
	global_store_dwordx2 v[12:13], v[10:11], off
	s_andn2_b64 exec, exec, s[28:29]
	s_cbranch_execz .LBB2_21
.LBB2_9:                                ; =>This Inner Loop Header: Depth=1
	v_mov_b32_e32 v4, s36
	v_add_co_u32_e32 v10, vcc, s33, v6
	v_addc_co_u32_e32 v11, vcc, 0, v4, vcc
	v_mov_b32_e32 v4, s38
	v_add_co_u32_e32 v14, vcc, s37, v6
	v_addc_co_u32_e32 v15, vcc, 0, v4, vcc
	global_load_dwordx2 v[20:21], v[14:15], off
	v_mov_b32_e32 v4, s40
	v_add_co_u32_e32 v12, vcc, s39, v6
	v_addc_co_u32_e32 v13, vcc, 0, v4, vcc
	global_load_dwordx2 v[16:17], v[10:11], off
	global_load_dwordx2 v[18:19], v[12:13], off
	s_and_b64 vcc, exec, s[2:3]
	s_waitcnt vmcnt(2)
	v_cvt_f32_f16_e32 v4, v20
	s_cbranch_vccnz .LBB2_11
; %bb.10:                               ;   in Loop: Header=BB2_9 Depth=1
	global_load_dword v7, v5, s[16:17]
	s_waitcnt vmcnt(0)
	v_div_scale_f32 v22, s[6:7], v7, v7, v4
	v_rcp_f32_e32 v23, v22
	v_div_scale_f32 v24, vcc, v4, v7, v4
	v_fma_f32 v25, -v22, v23, 1.0
	v_fmac_f32_e32 v23, v25, v23
	v_mul_f32_e32 v25, v24, v23
	v_fma_f32 v26, -v22, v25, v24
	v_fmac_f32_e32 v25, v26, v23
	v_fma_f32 v22, -v22, v25, v24
	v_div_fmas_f32 v22, v22, v23, v25
	v_div_fixup_f32 v4, v22, v7, v4
.LBB2_11:                               ;   in Loop: Header=BB2_9 Depth=1
	v_cvt_f32_f16_sdwa v7, v20 dst_sel:DWORD dst_unused:UNUSED_PAD src0_sel:WORD_1
	s_and_b64 vcc, exec, s[2:3]
	s_cbranch_vccnz .LBB2_13
; %bb.12:                               ;   in Loop: Header=BB2_9 Depth=1
	global_load_dword v20, v5, s[16:17]
	s_waitcnt vmcnt(0)
	v_div_scale_f32 v22, s[6:7], v20, v20, v7
	v_rcp_f32_e32 v23, v22
	v_div_scale_f32 v24, vcc, v7, v20, v7
	v_fma_f32 v25, -v22, v23, 1.0
	v_fmac_f32_e32 v23, v25, v23
	v_mul_f32_e32 v25, v24, v23
	v_fma_f32 v26, -v22, v25, v24
	v_fmac_f32_e32 v25, v26, v23
	v_fma_f32 v22, -v22, v25, v24
	v_div_fmas_f32 v22, v22, v23, v25
	v_div_fixup_f32 v7, v22, v20, v7
.LBB2_13:                               ;   in Loop: Header=BB2_9 Depth=1
	v_cvt_f32_f16_e32 v20, v21
	s_and_b64 vcc, exec, s[2:3]
	s_cbranch_vccnz .LBB2_15
; %bb.14:                               ;   in Loop: Header=BB2_9 Depth=1
	global_load_dword v22, v5, s[16:17]
	s_waitcnt vmcnt(0)
	v_div_scale_f32 v23, s[6:7], v22, v22, v20
	v_rcp_f32_e32 v24, v23
	v_div_scale_f32 v25, vcc, v20, v22, v20
	v_fma_f32 v26, -v23, v24, 1.0
	v_fmac_f32_e32 v24, v26, v24
	v_mul_f32_e32 v26, v25, v24
	v_fma_f32 v27, -v23, v26, v25
	v_fmac_f32_e32 v26, v27, v24
	v_fma_f32 v23, -v23, v26, v25
	v_div_fmas_f32 v23, v23, v24, v26
	v_div_fixup_f32 v20, v23, v22, v20
.LBB2_15:                               ;   in Loop: Header=BB2_9 Depth=1
	v_cvt_f32_f16_sdwa v21, v21 dst_sel:DWORD dst_unused:UNUSED_PAD src0_sel:WORD_1
	s_and_b64 vcc, exec, s[2:3]
	s_cbranch_vccnz .LBB2_17
; %bb.16:                               ;   in Loop: Header=BB2_9 Depth=1
	global_load_dword v22, v5, s[16:17]
	s_waitcnt vmcnt(0)
	v_div_scale_f32 v23, s[6:7], v22, v22, v21
	v_rcp_f32_e32 v24, v23
	v_div_scale_f32 v25, vcc, v21, v22, v21
	v_fma_f32 v26, -v23, v24, 1.0
	v_fmac_f32_e32 v24, v26, v24
	v_mul_f32_e32 v26, v25, v24
	v_fma_f32 v27, -v23, v26, v25
	v_fmac_f32_e32 v26, v27, v24
	v_fma_f32 v23, -v23, v26, v25
	v_div_fmas_f32 v23, v23, v24, v26
	v_div_fixup_f32 v21, v23, v22, v21
.LBB2_17:                               ;   in Loop: Header=BB2_9 Depth=1
	s_waitcnt vmcnt(1)
	v_cvt_f32_f16_e32 v24, v17
	v_cndmask_b32_e64 v26, v20, -v20, s[18:19]
	v_cvt_f64_f32_e32 v[22:23], v26
	v_cndmask_b32_e64 v38, v21, -v21, s[18:19]
	v_cvt_f64_f32_e32 v[24:25], v24
	v_fmac_f64_e32 v[22:23], s[14:15], v[24:25]
	v_cvt_f32_f64_e32 v22, v[22:23]
	v_cndmask_b32_e64 v23, v26, v22, s[0:1]
	s_waitcnt vmcnt(0)
	v_fma_mix_f32 v22, v23, v23, v19 op_sel_hi:[0,0,1]
	v_mul_f32_e32 v26, 0x4f800000, v22
	v_cmp_gt_f32_e32 vcc, s42, v22
	v_cndmask_b32_e32 v28, v22, v26, vcc
	v_sqrt_f32_e32 v29, v28
	v_cvt_f64_f32_e32 v[26:27], v23
	v_mul_f64 v[26:27], v[2:3], v[26:27]
	v_add_u32_e32 v23, -1, v29
	v_fma_f32 v30, -v23, v29, v28
	v_cmp_ge_f32_e64 s[6:7], 0, v30
	v_add_u32_e32 v30, 1, v29
	v_cndmask_b32_e64 v23, v29, v23, s[6:7]
	v_fma_f32 v29, -v30, v29, v28
	v_cmp_lt_f32_e64 s[6:7], 0, v29
	v_cndmask_b32_e64 v23, v23, v30, s[6:7]
	v_mul_f32_e32 v29, 0x37800000, v23
	v_cndmask_b32_e32 v23, v23, v29, vcc
	v_cmp_class_f32_e32 vcc, v28, v1
	v_cndmask_b32_e32 v23, v23, v28, vcc
	v_cvt_f64_f32_e32 v[28:29], v23
	v_add_f64 v[28:29], v[28:29], s[20:21]
	v_div_scale_f64 v[30:31], s[6:7], v[28:29], v[28:29], v[26:27]
	v_rcp_f64_e32 v[32:33], v[30:31]
	v_cvt_f32_f16_sdwa v23, v16 dst_sel:DWORD dst_unused:UNUSED_PAD src0_sel:WORD_1
	v_cvt_f32_f16_e32 v16, v16
	v_fma_f64 v[34:35], -v[30:31], v[32:33], 1.0
	v_fmac_f64_e32 v[32:33], v[32:33], v[34:35]
	v_fma_f64 v[34:35], -v[30:31], v[32:33], 1.0
	v_fmac_f64_e32 v[32:33], v[32:33], v[34:35]
	v_div_scale_f64 v[34:35], vcc, v[26:27], v[28:29], v[26:27]
	v_mul_f64 v[36:37], v[34:35], v[32:33]
	v_fma_f64 v[30:31], -v[30:31], v[36:37], v[34:35]
	s_nop 1
	v_div_fmas_f64 v[30:31], v[30:31], v[32:33], v[36:37]
	v_cndmask_b32_e64 v36, v7, -v7, s[18:19]
	v_cvt_f64_f32_e32 v[32:33], v23
	v_cvt_f64_f32_e32 v[34:35], v36
	v_fmac_f64_e32 v[34:35], s[14:15], v[32:33]
	v_cvt_f32_f64_e32 v23, v[34:35]
	v_cndmask_b32_e64 v34, v36, v23, s[0:1]
	v_fma_mix_f32 v23, v34, v34, v18 op_sel:[0,0,1] op_sel_hi:[0,0,1]
	v_mul_f32_e32 v35, 0x4f800000, v23
	v_cmp_gt_f32_e32 vcc, s42, v23
	v_cndmask_b32_e32 v35, v23, v35, vcc
	v_sqrt_f32_e32 v36, v35
	v_div_fixup_f64 v[26:27], v[30:31], v[28:29], v[26:27]
	v_cvt_f64_f32_e32 v[28:29], v34
	v_mul_f64 v[28:29], v[2:3], v[28:29]
	v_add_u32_e32 v30, -1, v36
	v_fma_f32 v31, -v30, v36, v35
	v_cmp_ge_f32_e64 s[6:7], 0, v31
	v_add_u32_e32 v31, 1, v36
	v_fma_f32 v34, -v31, v36, v35
	v_cndmask_b32_e64 v30, v36, v30, s[6:7]
	v_cmp_lt_f32_e64 s[6:7], 0, v34
	v_cndmask_b32_e64 v30, v30, v31, s[6:7]
	v_mul_f32_e32 v31, 0x37800000, v30
	v_cndmask_b32_e32 v30, v30, v31, vcc
	v_cmp_class_f32_e32 vcc, v35, v1
	v_cndmask_b32_e32 v30, v30, v35, vcc
	v_cvt_f64_f32_e32 v[30:31], v30
	v_add_f64 v[30:31], v[30:31], s[20:21]
	v_div_scale_f64 v[34:35], s[6:7], v[30:31], v[30:31], v[28:29]
	v_rcp_f64_e32 v[36:37], v[34:35]
	v_add_f64 v[24:25], v[24:25], -v[26:27]
	v_cvt_f32_f64_e32 v24, v[24:25]
	v_cvt_f16_f32_e32 v40, v24
	v_fma_f64 v[24:25], -v[34:35], v[36:37], 1.0
	v_fmac_f64_e32 v[36:37], v[36:37], v[24:25]
	v_fma_f64 v[24:25], -v[34:35], v[36:37], 1.0
	v_fmac_f64_e32 v[36:37], v[36:37], v[24:25]
	v_div_scale_f64 v[24:25], vcc, v[28:29], v[30:31], v[28:29]
	v_mul_f64 v[26:27], v[24:25], v[36:37]
	v_fma_f64 v[24:25], -v[34:35], v[26:27], v[24:25]
	s_nop 1
	v_div_fmas_f64 v[24:25], v[24:25], v[36:37], v[26:27]
	v_cndmask_b32_e64 v36, v4, -v4, s[18:19]
	v_cvt_f64_f32_e32 v[26:27], v16
	v_cvt_f64_f32_e32 v[34:35], v36
	v_fmac_f64_e32 v[34:35], s[14:15], v[26:27]
	v_cvt_f32_f64_e32 v16, v[34:35]
	v_cndmask_b32_e64 v16, v36, v16, s[0:1]
	v_fma_mix_f32 v18, v16, v16, v18 op_sel_hi:[0,0,1]
	v_mul_f32_e32 v34, 0x4f800000, v18
	v_cmp_gt_f32_e32 vcc, s42, v18
	v_cndmask_b32_e32 v34, v18, v34, vcc
	v_sqrt_f32_e32 v35, v34
	v_div_fixup_f64 v[24:25], v[24:25], v[30:31], v[28:29]
	v_cvt_f64_f32_e32 v[28:29], v16
	v_mul_f64 v[28:29], v[2:3], v[28:29]
	v_add_u32_e32 v16, -1, v35
	v_fma_f32 v30, -v16, v35, v34
	v_cmp_ge_f32_e64 s[6:7], 0, v30
	v_add_u32_e32 v30, 1, v35
	v_fma_f32 v31, -v30, v35, v34
	v_cndmask_b32_e64 v16, v35, v16, s[6:7]
	v_cmp_lt_f32_e64 s[6:7], 0, v31
	v_cndmask_b32_e64 v16, v16, v30, s[6:7]
	v_mul_f32_e32 v30, 0x37800000, v16
	v_cndmask_b32_e32 v16, v16, v30, vcc
	v_cmp_class_f32_e32 vcc, v34, v1
	v_cndmask_b32_e32 v16, v16, v34, vcc
	v_cvt_f64_f32_e32 v[30:31], v16
	v_add_f64 v[30:31], v[30:31], s[20:21]
	v_div_scale_f64 v[34:35], s[6:7], v[30:31], v[30:31], v[28:29]
	v_rcp_f64_e32 v[36:37], v[34:35]
	v_add_f64 v[24:25], v[32:33], -v[24:25]
	v_cvt_f32_f64_e32 v16, v[24:25]
	v_cvt_f32_f16_sdwa v32, v17 dst_sel:DWORD dst_unused:UNUSED_PAD src0_sel:WORD_1
	v_fma_f64 v[24:25], -v[34:35], v[36:37], 1.0
	v_fmac_f64_e32 v[36:37], v[36:37], v[24:25]
	v_fma_f64 v[24:25], -v[34:35], v[36:37], 1.0
	v_fmac_f64_e32 v[36:37], v[36:37], v[24:25]
	v_div_scale_f64 v[24:25], vcc, v[28:29], v[30:31], v[28:29]
	v_cvt_f16_f32_e32 v41, v16
	v_mul_f64 v[16:17], v[24:25], v[36:37]
	v_fma_f64 v[24:25], -v[34:35], v[16:17], v[24:25]
	v_cvt_f64_f32_e32 v[32:33], v32
	v_cvt_f64_f32_e32 v[34:35], v38
	v_fmac_f64_e32 v[34:35], s[14:15], v[32:33]
	v_cvt_f32_f64_e32 v34, v[34:35]
	v_cndmask_b32_e64 v34, v38, v34, s[0:1]
	v_fma_mix_f32 v19, v34, v34, v19 op_sel:[0,0,1] op_sel_hi:[0,0,1]
	v_mul_f32_e32 v35, 0x4f800000, v19
	v_cmp_gt_f32_e64 s[6:7], s42, v19
	v_cndmask_b32_e64 v35, v19, v35, s[6:7]
	v_sqrt_f32_e32 v38, v35
	v_div_fmas_f64 v[16:17], v[24:25], v[36:37], v[16:17]
	v_cvt_f64_f32_e32 v[24:25], v34
	v_mul_f64 v[24:25], v[2:3], v[24:25]
	v_add_u32_e32 v34, -1, v38
	v_fma_f32 v36, -v34, v38, v35
	v_cmp_ge_f32_e32 vcc, 0, v36
	v_add_u32_e32 v36, 1, v38
	v_fma_f32 v37, -v36, v38, v35
	v_cndmask_b32_e32 v34, v38, v34, vcc
	v_cmp_lt_f32_e32 vcc, 0, v37
	v_cndmask_b32_e32 v34, v34, v36, vcc
	v_mul_f32_e32 v36, 0x37800000, v34
	v_cndmask_b32_e64 v34, v34, v36, s[6:7]
	v_cmp_class_f32_e32 vcc, v35, v1
	v_cndmask_b32_e32 v34, v34, v35, vcc
	v_cvt_f64_f32_e32 v[34:35], v34
	v_add_f64 v[34:35], v[34:35], s[20:21]
	v_div_scale_f64 v[36:37], s[6:7], v[34:35], v[34:35], v[24:25]
	v_rcp_f64_e32 v[38:39], v[36:37]
	v_div_fixup_f64 v[16:17], v[16:17], v[30:31], v[28:29]
	v_add_f64 v[16:17], v[26:27], -v[16:17]
	v_cvt_f32_f64_e32 v28, v[16:17]
	v_fma_f64 v[16:17], -v[36:37], v[38:39], 1.0
	v_fmac_f64_e32 v[38:39], v[38:39], v[16:17]
	v_fma_f64 v[16:17], -v[36:37], v[38:39], 1.0
	v_fmac_f64_e32 v[38:39], v[38:39], v[16:17]
	v_div_scale_f64 v[16:17], vcc, v[24:25], v[34:35], v[24:25]
	v_mul_f64 v[26:27], v[16:17], v[38:39]
	v_fma_f64 v[16:17], -v[36:37], v[26:27], v[16:17]
	s_nop 1
	v_div_fmas_f64 v[16:17], v[16:17], v[38:39], v[26:27]
	v_div_fixup_f64 v[16:17], v[16:17], v[34:35], v[24:25]
	v_add_f64 v[16:17], v[32:33], -v[16:17]
	v_cvt_f32_f64_e32 v16, v[16:17]
	v_cvt_f16_f32_e32 v16, v16
	v_cvt_f16_f32_e32 v24, v28
	s_and_b64 vcc, exec, s[2:3]
	v_perm_b32 v17, v16, v40, s43
	v_perm_b32 v16, v41, v24, s43
	s_cbranch_vccnz .LBB2_19
; %bb.18:                               ;   in Loop: Header=BB2_9 Depth=1
	v_cvt_f16_f32_e32 v20, v20
	v_cvt_f16_f32_e32 v7, v7
	;; [unrolled: 1-line block ×4, first 2 shown]
	global_store_dwordx2 v[10:11], v[16:17], off
	v_pack_b32_f16 v21, v20, v21
	v_pack_b32_f16 v20, v4, v7
	global_store_dwordx2 v[14:15], v[20:21], off
	s_cbranch_execnz .LBB2_8
	s_branch .LBB2_20
.LBB2_19:                               ;   in Loop: Header=BB2_9 Depth=1
.LBB2_20:                               ;   in Loop: Header=BB2_9 Depth=1
	global_store_dwordx2 v[10:11], v[16:17], off
	s_branch .LBB2_8
.LBB2_21:
	s_or_b64 exec, exec, s[26:27]
	s_mov_b64 s[0:1], 0
.LBB2_22:
	s_andn2_b64 vcc, exec, s[0:1]
	s_cbranch_vccnz .LBB2_76
; %bb.23:
	v_cmp_lt_i64_e64 s[0:1], s[22:23], 1
	s_and_b64 vcc, exec, s[0:1]
	s_cbranch_vccnz .LBB2_76
; %bb.24:
	s_load_dword s0, s[4:5], 0xe1c
	v_mov_b32_e32 v4, 0x10000
	v_mov_b32_e32 v5, 0
	v_cmp_lt_u64_e32 vcc, s[22:23], v[4:5]
	v_lshlrev_b32_e32 v16, 1, v0
	s_waitcnt lgkmcnt(0)
	s_and_b32 s4, s0, 0xffff
	s_and_b64 s[0:1], vcc, exec
	v_mov_b32_e32 v21, s9
	v_add_co_u32_e32 v4, vcc, s8, v16
	v_addc_co_u32_e32 v1, vcc, 0, v21, vcc
	v_mov_b32_e32 v23, s11
	v_add_co_u32_e32 v6, vcc, s10, v16
	v_addc_co_u32_e32 v5, vcc, 0, v23, vcc
	v_mov_b32_e32 v17, 0
	v_mov_b32_e32 v25, s35
	v_add_co_u32_e32 v8, vcc, s34, v16
	v_addc_co_u32_e32 v7, vcc, 0, v25, vcc
	v_mad_u64_u32 v[14:15], s[2:3], s4, 6, v[16:17]
	v_add_co_u32_e32 v10, vcc, s8, v14
	v_addc_co_u32_e32 v9, vcc, v21, v15, vcc
	v_add_co_u32_e32 v12, vcc, s10, v14
	v_addc_co_u32_e32 v11, vcc, v23, v15, vcc
	s_cselect_b32 s27, s23, 0
	s_cselect_b32 s26, s22, 0x10000
	s_lshl_b32 s5, s4, 1
	v_add_co_u32_e32 v14, vcc, s34, v14
	s_mul_i32 s6, s4, 3
	s_cmp_lg_u64 s[16:17], 0
	v_addc_co_u32_e32 v13, vcc, v25, v15, vcc
	s_cselect_b64 s[30:31], -1, 0
	s_lshl_b32 s36, s4, 2
	v_add_co_u32_e32 v27, vcc, s6, v0
	v_addc_co_u32_e64 v30, s[2:3], 0, 0, vcc
	v_add_co_u32_e32 v19, vcc, s36, v16
	v_addc_co_u32_e64 v22, s[2:3], 0, 0, vcc
	v_add_co_u32_e32 v16, vcc, s8, v19
	v_addc_co_u32_e32 v15, vcc, v21, v22, vcc
	v_add_co_u32_e32 v18, vcc, s10, v19
	v_addc_co_u32_e32 v17, vcc, v23, v22, vcc
	;; [unrolled: 2-line block ×3, first 2 shown]
	v_add_co_u32_e32 v31, vcc, s5, v0
	v_addc_co_u32_e64 v32, s[2:3], 0, 0, vcc
	v_add_co_u32_e32 v33, vcc, s4, v0
	v_lshlrev_b32_e32 v26, 1, v33
	v_addc_co_u32_e64 v34, s[2:3], 0, 0, vcc
	v_add_co_u32_e32 v22, vcc, s8, v26
	v_addc_co_u32_e32 v21, vcc, 0, v21, vcc
	v_add_co_u32_e32 v24, vcc, s10, v26
	v_addc_co_u32_e32 v23, vcc, 0, v23, vcc
	v_add_co_u32_e32 v26, vcc, s34, v26
	s_mov_b32 s33, 0
	s_mov_b64 s[28:29], 0
	v_cmp_neq_f64_e64 s[0:1], s[14:15], 0
	s_lshl_b32 s37, s4, 3
	v_addc_co_u32_e32 v25, vcc, 0, v25, vcc
	s_mov_b32 s38, 0xf800000
	v_mov_b32_e32 v35, 0x260
	s_branch .LBB2_26
.LBB2_25:                               ;   in Loop: Header=BB2_26 Depth=1
	s_or_b64 exec, exec, s[2:3]
	s_add_u32 s28, s28, s36
	s_addc_u32 s29, s29, 0
	v_pk_mov_b32 v[28:29], s[22:23], s[22:23] op_sel:[0,1]
	v_cmp_ge_i64_e32 vcc, s[28:29], v[28:29]
	v_mov_b32_e32 v28, 0xffff
	v_mov_b32_e32 v29, 0
	v_cmp_gt_u64_e64 s[2:3], s[28:29], v[28:29]
	s_or_b64 s[2:3], vcc, s[2:3]
	v_mov_b32_e32 v28, s33
	v_add_co_u32_e32 v4, vcc, s37, v4
	v_addc_co_u32_e32 v1, vcc, v1, v28, vcc
	v_add_co_u32_e32 v6, vcc, s37, v6
	v_addc_co_u32_e32 v5, vcc, v5, v28, vcc
	;; [unrolled: 2-line block ×12, first 2 shown]
	s_and_b64 vcc, exec, s[2:3]
	s_cbranch_vccnz .LBB2_76
.LBB2_26:                               ; =>This Inner Loop Header: Depth=1
	v_mov_b32_e32 v29, s29
	v_add_co_u32_e32 v28, vcc, s28, v0
	v_addc_co_u32_e32 v29, vcc, 0, v29, vcc
	v_cmp_gt_u64_e64 s[2:3], s[26:27], v[28:29]
	v_mov_b32_e32 v28, 0
	v_mov_b32_e32 v29, 0
	s_and_saveexec_b64 s[4:5], s[2:3]
	s_cbranch_execz .LBB2_28
; %bb.27:                               ;   in Loop: Header=BB2_26 Depth=1
	v_mov_b32_e32 v28, s25
	v_add_co_u32_e32 v36, vcc, s24, v6
	v_addc_co_u32_e32 v37, vcc, v5, v28, vcc
	v_add_co_u32_e32 v38, vcc, s24, v4
	v_addc_co_u32_e32 v39, vcc, v1, v28, vcc
	global_load_ushort v28, v[38:39], off
	global_load_ushort v29, v[36:37], off
.LBB2_28:                               ;   in Loop: Header=BB2_26 Depth=1
	s_or_b64 exec, exec, s[4:5]
	v_mov_b32_e32 v41, 0
	v_mov_b32_e32 v43, 0
	s_and_saveexec_b64 s[4:5], s[2:3]
	s_cbranch_execz .LBB2_30
; %bb.29:                               ;   in Loop: Header=BB2_26 Depth=1
	v_mov_b32_e32 v37, s25
	v_add_co_u32_e32 v36, vcc, s24, v8
	v_addc_co_u32_e32 v37, vcc, v7, v37, vcc
	global_load_ushort v43, v[36:37], off
.LBB2_30:                               ;   in Loop: Header=BB2_26 Depth=1
	s_or_b64 exec, exec, s[4:5]
	v_mov_b32_e32 v37, s29
	v_add_co_u32_e32 v36, vcc, s28, v33
	v_addc_co_u32_e32 v37, vcc, v34, v37, vcc
	v_cmp_gt_u64_e64 s[4:5], s[26:27], v[36:37]
	v_mov_b32_e32 v38, 0
	s_and_saveexec_b64 s[6:7], s[4:5]
	s_cbranch_execz .LBB2_32
; %bb.31:                               ;   in Loop: Header=BB2_26 Depth=1
	v_mov_b32_e32 v38, s25
	v_add_co_u32_e32 v36, vcc, s24, v24
	v_addc_co_u32_e32 v37, vcc, v23, v38, vcc
	v_add_co_u32_e32 v44, vcc, s24, v22
	v_addc_co_u32_e32 v45, vcc, v21, v38, vcc
	global_load_ushort v41, v[44:45], off
	global_load_ushort v38, v[36:37], off
.LBB2_32:                               ;   in Loop: Header=BB2_26 Depth=1
	s_or_b64 exec, exec, s[6:7]
	v_mov_b32_e32 v39, 0
	v_mov_b32_e32 v46, 0
	s_and_saveexec_b64 s[6:7], s[4:5]
	s_cbranch_execz .LBB2_34
; %bb.33:                               ;   in Loop: Header=BB2_26 Depth=1
	v_mov_b32_e32 v37, s25
	v_add_co_u32_e32 v36, vcc, s24, v26
	v_addc_co_u32_e32 v37, vcc, v25, v37, vcc
	global_load_ushort v46, v[36:37], off
.LBB2_34:                               ;   in Loop: Header=BB2_26 Depth=1
	s_or_b64 exec, exec, s[6:7]
	v_mov_b32_e32 v37, s29
	v_add_co_u32_e32 v36, vcc, s28, v31
	v_addc_co_u32_e32 v37, vcc, v32, v37, vcc
	v_cmp_gt_u64_e64 s[6:7], s[26:27], v[36:37]
	;; [unrolled: 28-line block ×3, first 2 shown]
	v_mov_b32_e32 v42, 0
	s_and_saveexec_b64 s[10:11], s[8:9]
	s_cbranch_execz .LBB2_40
; %bb.39:                               ;   in Loop: Header=BB2_26 Depth=1
	v_mov_b32_e32 v36, s25
	v_add_co_u32_e32 v48, vcc, s24, v12
	v_addc_co_u32_e32 v49, vcc, v11, v36, vcc
	v_add_co_u32_e32 v50, vcc, s24, v10
	v_addc_co_u32_e32 v51, vcc, v9, v36, vcc
	global_load_ushort v37, v[50:51], off
	global_load_ushort v42, v[48:49], off
.LBB2_40:                               ;   in Loop: Header=BB2_26 Depth=1
	s_or_b64 exec, exec, s[10:11]
	v_mov_b32_e32 v44, 0
	s_and_saveexec_b64 s[10:11], s[8:9]
	s_cbranch_execz .LBB2_42
; %bb.41:                               ;   in Loop: Header=BB2_26 Depth=1
	v_mov_b32_e32 v36, s25
	v_add_co_u32_e32 v48, vcc, s24, v14
	v_addc_co_u32_e32 v49, vcc, v13, v36, vcc
	global_load_ushort v44, v[48:49], off
.LBB2_42:                               ;   in Loop: Header=BB2_26 Depth=1
	s_or_b64 exec, exec, s[10:11]
	s_waitcnt vmcnt(0)
	v_cvt_f32_f16_e32 v36, v29
	v_cndmask_b32_e64 v29, 0, 1, s[30:31]
	v_cmp_ne_u32_e64 s[10:11], 1, v29
	s_andn2_b64 vcc, exec, s[30:31]
	s_cbranch_vccnz .LBB2_44
; %bb.43:                               ;   in Loop: Header=BB2_26 Depth=1
	s_load_dword s34, s[16:17], 0x0
	s_waitcnt lgkmcnt(0)
	v_div_scale_f32 v29, s[12:13], s34, s34, v36
	v_rcp_f32_e32 v47, v29
	v_div_scale_f32 v48, vcc, v36, s34, v36
	v_fma_f32 v49, -v29, v47, 1.0
	v_fmac_f32_e32 v47, v49, v47
	v_mul_f32_e32 v49, v48, v47
	v_fma_f32 v50, -v29, v49, v48
	v_fmac_f32_e32 v49, v50, v47
	v_fma_f32 v29, -v29, v49, v48
	v_div_fmas_f32 v29, v29, v47, v49
	v_div_fixup_f32 v36, v29, s34, v36
.LBB2_44:                               ;   in Loop: Header=BB2_26 Depth=1
	v_cvt_f32_f16_e32 v38, v38
	s_and_b64 vcc, exec, s[10:11]
	s_cbranch_vccnz .LBB2_46
; %bb.45:                               ;   in Loop: Header=BB2_26 Depth=1
	s_load_dword s34, s[16:17], 0x0
	s_waitcnt lgkmcnt(0)
	v_div_scale_f32 v29, s[12:13], s34, s34, v38
	v_rcp_f32_e32 v47, v29
	v_div_scale_f32 v48, vcc, v38, s34, v38
	v_fma_f32 v49, -v29, v47, 1.0
	v_fmac_f32_e32 v47, v49, v47
	v_mul_f32_e32 v49, v48, v47
	v_fma_f32 v50, -v29, v49, v48
	v_fmac_f32_e32 v49, v50, v47
	v_fma_f32 v29, -v29, v49, v48
	v_div_fmas_f32 v29, v29, v47, v49
	v_div_fixup_f32 v38, v29, s34, v38
.LBB2_46:                               ;   in Loop: Header=BB2_26 Depth=1
	v_cvt_f32_f16_e32 v40, v40
	s_and_b64 vcc, exec, s[10:11]
	;; [unrolled: 18-line block ×3, first 2 shown]
	s_cbranch_vccnz .LBB2_50
; %bb.49:                               ;   in Loop: Header=BB2_26 Depth=1
	s_load_dword s34, s[16:17], 0x0
	s_waitcnt lgkmcnt(0)
	v_div_scale_f32 v29, s[12:13], s34, s34, v42
	v_rcp_f32_e32 v47, v29
	v_div_scale_f32 v48, vcc, v42, s34, v42
	v_fma_f32 v49, -v29, v47, 1.0
	v_fmac_f32_e32 v47, v49, v47
	v_mul_f32_e32 v49, v48, v47
	v_fma_f32 v50, -v29, v49, v48
	v_fmac_f32_e32 v49, v50, v47
	v_fma_f32 v29, -v29, v49, v48
	v_div_fmas_f32 v29, v29, v47, v49
	v_div_fixup_f32 v42, v29, s34, v42
.LBB2_50:                               ;   in Loop: Header=BB2_26 Depth=1
	v_cvt_f32_f16_e32 v28, v28
	v_cndmask_b32_e64 v47, v36, -v36, s[18:19]
	v_cvt_f64_f32_e32 v[48:49], v47
	v_cvt_f64_f32_e32 v[28:29], v28
	v_fmac_f64_e32 v[48:49], s[14:15], v[28:29]
	v_cvt_f32_f64_e32 v48, v[48:49]
	v_cndmask_b32_e64 v47, v47, v48, s[0:1]
	v_fma_mix_f32 v43, v47, v47, v43 op_sel_hi:[0,0,1]
	s_and_saveexec_b64 s[34:35], s[2:3]
	s_cbranch_execz .LBB2_52
; %bb.51:                               ;   in Loop: Header=BB2_26 Depth=1
	v_mul_f32_e32 v48, 0x4f800000, v43
	v_cmp_gt_f32_e32 vcc, s38, v43
	v_cndmask_b32_e32 v50, v43, v48, vcc
	v_sqrt_f32_e32 v51, v50
	v_cvt_f64_f32_e32 v[48:49], v47
	v_mul_f64 v[48:49], v[2:3], v[48:49]
	v_add_u32_e32 v47, -1, v51
	v_fma_f32 v52, -v47, v51, v50
	v_cmp_ge_f32_e64 s[12:13], 0, v52
	v_add_u32_e32 v52, 1, v51
	v_cndmask_b32_e64 v47, v51, v47, s[12:13]
	v_fma_f32 v51, -v52, v51, v50
	v_cmp_lt_f32_e64 s[12:13], 0, v51
	v_cndmask_b32_e64 v47, v47, v52, s[12:13]
	v_mul_f32_e32 v51, 0x37800000, v47
	v_cndmask_b32_e32 v47, v47, v51, vcc
	v_cmp_class_f32_e32 vcc, v50, v35
	v_cndmask_b32_e32 v47, v47, v50, vcc
	v_cvt_f64_f32_e32 v[50:51], v47
	v_add_f64 v[50:51], v[50:51], s[20:21]
	v_div_scale_f64 v[52:53], s[12:13], v[50:51], v[50:51], v[48:49]
	v_rcp_f64_e32 v[54:55], v[52:53]
	v_fma_f64 v[56:57], -v[52:53], v[54:55], 1.0
	v_fmac_f64_e32 v[54:55], v[54:55], v[56:57]
	v_fma_f64 v[56:57], -v[52:53], v[54:55], 1.0
	v_fmac_f64_e32 v[54:55], v[54:55], v[56:57]
	v_div_scale_f64 v[56:57], vcc, v[48:49], v[50:51], v[48:49]
	v_mul_f64 v[58:59], v[56:57], v[54:55]
	v_fma_f64 v[52:53], -v[52:53], v[58:59], v[56:57]
	s_nop 1
	v_div_fmas_f64 v[52:53], v[52:53], v[54:55], v[58:59]
	v_div_fixup_f64 v[48:49], v[52:53], v[50:51], v[48:49]
	v_add_f64 v[28:29], v[28:29], -v[48:49]
	v_cvt_f32_f64_e32 v28, v[28:29]
	v_cvt_f16_f32_e32 v47, v28
	v_mov_b32_e32 v29, s25
	v_add_co_u32_e32 v28, vcc, s24, v4
	v_addc_co_u32_e32 v29, vcc, v1, v29, vcc
	global_store_short v[28:29], v47, off
.LBB2_52:                               ;   in Loop: Header=BB2_26 Depth=1
	s_or_b64 exec, exec, s[34:35]
	v_cvt_f32_f16_e32 v28, v41
	v_cndmask_b32_e64 v41, v38, -v38, s[18:19]
	v_cvt_f64_f32_e32 v[48:49], v41
	v_cvt_f64_f32_e32 v[28:29], v28
	v_fmac_f64_e32 v[48:49], s[14:15], v[28:29]
	v_cvt_f32_f64_e32 v47, v[48:49]
	v_cndmask_b32_e64 v47, v41, v47, s[0:1]
	v_fma_mix_f32 v41, v47, v47, v46 op_sel_hi:[0,0,1]
	s_and_saveexec_b64 s[34:35], s[4:5]
	s_cbranch_execz .LBB2_54
; %bb.53:                               ;   in Loop: Header=BB2_26 Depth=1
	v_mul_f32_e32 v46, 0x4f800000, v41
	v_cmp_gt_f32_e32 vcc, s38, v41
	v_cndmask_b32_e32 v48, v41, v46, vcc
	v_sqrt_f32_e32 v49, v48
	v_cvt_f64_f32_e32 v[46:47], v47
	v_mul_f64 v[46:47], v[2:3], v[46:47]
	v_add_u32_e32 v50, -1, v49
	v_fma_f32 v51, -v50, v49, v48
	v_cmp_ge_f32_e64 s[12:13], 0, v51
	v_add_u32_e32 v51, 1, v49
	v_cndmask_b32_e64 v50, v49, v50, s[12:13]
	v_fma_f32 v49, -v51, v49, v48
	v_cmp_lt_f32_e64 s[12:13], 0, v49
	v_cndmask_b32_e64 v49, v50, v51, s[12:13]
	v_mul_f32_e32 v50, 0x37800000, v49
	v_cndmask_b32_e32 v49, v49, v50, vcc
	v_cmp_class_f32_e32 vcc, v48, v35
	v_cndmask_b32_e32 v48, v49, v48, vcc
	v_cvt_f64_f32_e32 v[48:49], v48
	v_add_f64 v[48:49], v[48:49], s[20:21]
	v_div_scale_f64 v[50:51], s[12:13], v[48:49], v[48:49], v[46:47]
	v_rcp_f64_e32 v[52:53], v[50:51]
	v_fma_f64 v[54:55], -v[50:51], v[52:53], 1.0
	v_fmac_f64_e32 v[52:53], v[52:53], v[54:55]
	v_fma_f64 v[54:55], -v[50:51], v[52:53], 1.0
	v_fmac_f64_e32 v[52:53], v[52:53], v[54:55]
	v_div_scale_f64 v[54:55], vcc, v[46:47], v[48:49], v[46:47]
	v_mul_f64 v[56:57], v[54:55], v[52:53]
	v_fma_f64 v[50:51], -v[50:51], v[56:57], v[54:55]
	s_nop 1
	v_div_fmas_f64 v[50:51], v[50:51], v[52:53], v[56:57]
	v_div_fixup_f64 v[46:47], v[50:51], v[48:49], v[46:47]
	v_add_f64 v[28:29], v[28:29], -v[46:47]
	v_cvt_f32_f64_e32 v28, v[28:29]
	v_cvt_f16_f32_e32 v46, v28
	v_mov_b32_e32 v29, s25
	v_add_co_u32_e32 v28, vcc, s24, v22
	v_addc_co_u32_e32 v29, vcc, v21, v29, vcc
	global_store_short v[28:29], v46, off
.LBB2_54:                               ;   in Loop: Header=BB2_26 Depth=1
	s_or_b64 exec, exec, s[34:35]
	;; [unrolled: 52-line block ×4, first 2 shown]
	s_and_b64 vcc, exec, s[10:11]
	s_cbranch_vccnz .LBB2_65
; %bb.59:                               ;   in Loop: Header=BB2_26 Depth=1
	s_and_saveexec_b64 s[10:11], s[2:3]
	s_cbranch_execnz .LBB2_73
; %bb.60:                               ;   in Loop: Header=BB2_26 Depth=1
	s_or_b64 exec, exec, s[10:11]
	s_and_saveexec_b64 s[10:11], s[4:5]
	s_cbranch_execnz .LBB2_74
.LBB2_61:                               ;   in Loop: Header=BB2_26 Depth=1
	s_or_b64 exec, exec, s[10:11]
	s_and_saveexec_b64 s[10:11], s[6:7]
	s_cbranch_execnz .LBB2_75
.LBB2_62:                               ;   in Loop: Header=BB2_26 Depth=1
	s_or_b64 exec, exec, s[10:11]
	s_and_saveexec_b64 s[10:11], s[8:9]
	s_cbranch_execz .LBB2_64
.LBB2_63:                               ;   in Loop: Header=BB2_26 Depth=1
	v_cvt_f16_f32_e32 v36, v42
	v_mov_b32_e32 v29, s25
	v_add_co_u32_e32 v28, vcc, s24, v12
	v_addc_co_u32_e32 v29, vcc, v11, v29, vcc
	global_store_short v[28:29], v36, off
.LBB2_64:                               ;   in Loop: Header=BB2_26 Depth=1
	s_or_b64 exec, exec, s[10:11]
.LBB2_65:                               ;   in Loop: Header=BB2_26 Depth=1
	s_and_saveexec_b64 s[10:11], s[2:3]
	s_cbranch_execnz .LBB2_69
; %bb.66:                               ;   in Loop: Header=BB2_26 Depth=1
	s_or_b64 exec, exec, s[10:11]
	s_and_saveexec_b64 s[2:3], s[4:5]
	s_cbranch_execnz .LBB2_70
.LBB2_67:                               ;   in Loop: Header=BB2_26 Depth=1
	s_or_b64 exec, exec, s[2:3]
	s_and_saveexec_b64 s[2:3], s[6:7]
	s_cbranch_execnz .LBB2_71
.LBB2_68:                               ;   in Loop: Header=BB2_26 Depth=1
	s_or_b64 exec, exec, s[2:3]
	s_and_saveexec_b64 s[2:3], s[8:9]
	s_cbranch_execz .LBB2_25
	s_branch .LBB2_72
.LBB2_69:                               ;   in Loop: Header=BB2_26 Depth=1
	v_cvt_f16_f32_e32 v36, v43
	v_mov_b32_e32 v29, s25
	v_add_co_u32_e32 v28, vcc, s24, v8
	v_addc_co_u32_e32 v29, vcc, v7, v29, vcc
	global_store_short v[28:29], v36, off
	s_or_b64 exec, exec, s[10:11]
	s_and_saveexec_b64 s[2:3], s[4:5]
	s_cbranch_execz .LBB2_67
.LBB2_70:                               ;   in Loop: Header=BB2_26 Depth=1
	v_cvt_f16_f32_e32 v36, v41
	v_mov_b32_e32 v29, s25
	v_add_co_u32_e32 v28, vcc, s24, v26
	v_addc_co_u32_e32 v29, vcc, v25, v29, vcc
	global_store_short v[28:29], v36, off
	s_or_b64 exec, exec, s[2:3]
	s_and_saveexec_b64 s[2:3], s[6:7]
	s_cbranch_execz .LBB2_68
.LBB2_71:                               ;   in Loop: Header=BB2_26 Depth=1
	v_cvt_f16_f32_e32 v36, v39
	v_mov_b32_e32 v29, s25
	v_add_co_u32_e32 v28, vcc, s24, v20
	v_addc_co_u32_e32 v29, vcc, v19, v29, vcc
	global_store_short v[28:29], v36, off
	s_or_b64 exec, exec, s[2:3]
	s_and_saveexec_b64 s[2:3], s[8:9]
	s_cbranch_execz .LBB2_25
.LBB2_72:                               ;   in Loop: Header=BB2_26 Depth=1
	v_cvt_f16_f32_e32 v36, v37
	v_mov_b32_e32 v29, s25
	v_add_co_u32_e32 v28, vcc, s24, v14
	v_addc_co_u32_e32 v29, vcc, v13, v29, vcc
	global_store_short v[28:29], v36, off
	s_branch .LBB2_25
.LBB2_73:                               ;   in Loop: Header=BB2_26 Depth=1
	v_cvt_f16_f32_e32 v36, v36
	v_mov_b32_e32 v29, s25
	v_add_co_u32_e32 v28, vcc, s24, v6
	v_addc_co_u32_e32 v29, vcc, v5, v29, vcc
	global_store_short v[28:29], v36, off
	s_or_b64 exec, exec, s[10:11]
	s_and_saveexec_b64 s[10:11], s[4:5]
	s_cbranch_execz .LBB2_61
.LBB2_74:                               ;   in Loop: Header=BB2_26 Depth=1
	v_cvt_f16_f32_e32 v36, v38
	v_mov_b32_e32 v29, s25
	v_add_co_u32_e32 v28, vcc, s24, v24
	v_addc_co_u32_e32 v29, vcc, v23, v29, vcc
	global_store_short v[28:29], v36, off
	s_or_b64 exec, exec, s[10:11]
	s_and_saveexec_b64 s[10:11], s[6:7]
	s_cbranch_execz .LBB2_62
.LBB2_75:                               ;   in Loop: Header=BB2_26 Depth=1
	v_cvt_f16_f32_e32 v36, v40
	v_mov_b32_e32 v29, s25
	v_add_co_u32_e32 v28, vcc, s24, v18
	v_addc_co_u32_e32 v29, vcc, v17, v29, vcc
	global_store_short v[28:29], v36, off
	s_or_b64 exec, exec, s[10:11]
	s_and_saveexec_b64 s[10:11], s[8:9]
	s_cbranch_execnz .LBB2_63
	s_branch .LBB2_64
.LBB2_76:
	s_endpgm
	.section	.rodata,"a",@progbits
	.p2align	6, 0x0
	.amdhsa_kernel _ZN2at6native12_GLOBAL__N_125multi_tensor_apply_kernelINS1_32FusedOptimizerTensorListMetadataILi3EEENS1_23FusedAdagradMathFunctorIN3c104HalfEEEJPKfddddbSA_SA_EEEvT_T0_DpT1_
		.amdhsa_group_segment_fixed_size 0
		.amdhsa_private_segment_fixed_size 0
		.amdhsa_kernarg_size 3856
		.amdhsa_user_sgpr_count 6
		.amdhsa_user_sgpr_private_segment_buffer 1
		.amdhsa_user_sgpr_dispatch_ptr 0
		.amdhsa_user_sgpr_queue_ptr 0
		.amdhsa_user_sgpr_kernarg_segment_ptr 1
		.amdhsa_user_sgpr_dispatch_id 0
		.amdhsa_user_sgpr_flat_scratch_init 0
		.amdhsa_user_sgpr_kernarg_preload_length 0
		.amdhsa_user_sgpr_kernarg_preload_offset 0
		.amdhsa_user_sgpr_private_segment_size 0
		.amdhsa_uses_dynamic_stack 0
		.amdhsa_system_sgpr_private_segment_wavefront_offset 0
		.amdhsa_system_sgpr_workgroup_id_x 1
		.amdhsa_system_sgpr_workgroup_id_y 0
		.amdhsa_system_sgpr_workgroup_id_z 0
		.amdhsa_system_sgpr_workgroup_info 0
		.amdhsa_system_vgpr_workitem_id 0
		.amdhsa_next_free_vgpr 60
		.amdhsa_next_free_sgpr 44
		.amdhsa_accum_offset 60
		.amdhsa_reserve_vcc 1
		.amdhsa_reserve_flat_scratch 0
		.amdhsa_float_round_mode_32 0
		.amdhsa_float_round_mode_16_64 0
		.amdhsa_float_denorm_mode_32 3
		.amdhsa_float_denorm_mode_16_64 3
		.amdhsa_dx10_clamp 1
		.amdhsa_ieee_mode 1
		.amdhsa_fp16_overflow 0
		.amdhsa_tg_split 0
		.amdhsa_exception_fp_ieee_invalid_op 0
		.amdhsa_exception_fp_denorm_src 0
		.amdhsa_exception_fp_ieee_div_zero 0
		.amdhsa_exception_fp_ieee_overflow 0
		.amdhsa_exception_fp_ieee_underflow 0
		.amdhsa_exception_fp_ieee_inexact 0
		.amdhsa_exception_int_div_zero 0
	.end_amdhsa_kernel
	.section	.text._ZN2at6native12_GLOBAL__N_125multi_tensor_apply_kernelINS1_32FusedOptimizerTensorListMetadataILi3EEENS1_23FusedAdagradMathFunctorIN3c104HalfEEEJPKfddddbSA_SA_EEEvT_T0_DpT1_,"axG",@progbits,_ZN2at6native12_GLOBAL__N_125multi_tensor_apply_kernelINS1_32FusedOptimizerTensorListMetadataILi3EEENS1_23FusedAdagradMathFunctorIN3c104HalfEEEJPKfddddbSA_SA_EEEvT_T0_DpT1_,comdat
.Lfunc_end2:
	.size	_ZN2at6native12_GLOBAL__N_125multi_tensor_apply_kernelINS1_32FusedOptimizerTensorListMetadataILi3EEENS1_23FusedAdagradMathFunctorIN3c104HalfEEEJPKfddddbSA_SA_EEEvT_T0_DpT1_, .Lfunc_end2-_ZN2at6native12_GLOBAL__N_125multi_tensor_apply_kernelINS1_32FusedOptimizerTensorListMetadataILi3EEENS1_23FusedAdagradMathFunctorIN3c104HalfEEEJPKfddddbSA_SA_EEEvT_T0_DpT1_
                                        ; -- End function
	.section	.AMDGPU.csdata,"",@progbits
; Kernel info:
; codeLenInByte = 5164
; NumSgprs: 48
; NumVgprs: 60
; NumAgprs: 0
; TotalNumVgprs: 60
; ScratchSize: 0
; MemoryBound: 0
; FloatMode: 240
; IeeeMode: 1
; LDSByteSize: 0 bytes/workgroup (compile time only)
; SGPRBlocks: 5
; VGPRBlocks: 7
; NumSGPRsForWavesPerEU: 48
; NumVGPRsForWavesPerEU: 60
; AccumOffset: 60
; Occupancy: 8
; WaveLimiterHint : 0
; COMPUTE_PGM_RSRC2:SCRATCH_EN: 0
; COMPUTE_PGM_RSRC2:USER_SGPR: 6
; COMPUTE_PGM_RSRC2:TRAP_HANDLER: 0
; COMPUTE_PGM_RSRC2:TGID_X_EN: 1
; COMPUTE_PGM_RSRC2:TGID_Y_EN: 0
; COMPUTE_PGM_RSRC2:TGID_Z_EN: 0
; COMPUTE_PGM_RSRC2:TIDIG_COMP_CNT: 0
; COMPUTE_PGM_RSRC3_GFX90A:ACCUM_OFFSET: 14
; COMPUTE_PGM_RSRC3_GFX90A:TG_SPLIT: 0
	.section	.text._ZN2at6native12_GLOBAL__N_125multi_tensor_apply_kernelINS1_32FusedOptimizerTensorListMetadataILi3EEENS1_23FusedAdagradMathFunctorIN3c108BFloat16EEEJPKfddddbSA_SA_EEEvT_T0_DpT1_,"axG",@progbits,_ZN2at6native12_GLOBAL__N_125multi_tensor_apply_kernelINS1_32FusedOptimizerTensorListMetadataILi3EEENS1_23FusedAdagradMathFunctorIN3c108BFloat16EEEJPKfddddbSA_SA_EEEvT_T0_DpT1_,comdat
	.globl	_ZN2at6native12_GLOBAL__N_125multi_tensor_apply_kernelINS1_32FusedOptimizerTensorListMetadataILi3EEENS1_23FusedAdagradMathFunctorIN3c108BFloat16EEEJPKfddddbSA_SA_EEEvT_T0_DpT1_ ; -- Begin function _ZN2at6native12_GLOBAL__N_125multi_tensor_apply_kernelINS1_32FusedOptimizerTensorListMetadataILi3EEENS1_23FusedAdagradMathFunctorIN3c108BFloat16EEEJPKfddddbSA_SA_EEEvT_T0_DpT1_
	.p2align	8
	.type	_ZN2at6native12_GLOBAL__N_125multi_tensor_apply_kernelINS1_32FusedOptimizerTensorListMetadataILi3EEENS1_23FusedAdagradMathFunctorIN3c108BFloat16EEEJPKfddddbSA_SA_EEEvT_T0_DpT1_,@function
_ZN2at6native12_GLOBAL__N_125multi_tensor_apply_kernelINS1_32FusedOptimizerTensorListMetadataILi3EEENS1_23FusedAdagradMathFunctorIN3c108BFloat16EEEJPKfddddbSA_SA_EEEvT_T0_DpT1_: ; @_ZN2at6native12_GLOBAL__N_125multi_tensor_apply_kernelINS1_32FusedOptimizerTensorListMetadataILi3EEENS1_23FusedAdagradMathFunctorIN3c108BFloat16EEEJPKfddddbSA_SA_EEEvT_T0_DpT1_
; %bb.0:
	v_mov_b32_e32 v1, s6
	global_load_ubyte v1, v1, s[4:5] offset:1920
	s_load_dwordx8 s[8:15], s[4:5], 0xdd0
	s_add_u32 s0, s4, s6
	s_mul_hi_u32 s1, s6, 3
	s_mul_i32 s6, s6, 3
	s_addc_u32 s2, s5, 0
	s_add_u32 s0, s0, s6
	s_addc_u32 s1, s2, s1
	s_waitcnt lgkmcnt(0)
	s_cmp_eq_u64 s[8:9], 0
	v_pk_mov_b32 v[2:3], s[10:11], s[10:11] op_sel:[0,1]
	s_waitcnt vmcnt(0)
	v_readfirstlane_b32 s6, v1
	s_cbranch_scc1 .LBB3_2
; %bb.1:
	s_load_dword s2, s[8:9], 0x0
	s_waitcnt lgkmcnt(0)
	v_cvt_f64_f32_e32 v[2:3], s2
.LBB3_2:
	s_load_dwordx4 s[16:19], s[4:5], 0xe00
	s_waitcnt lgkmcnt(0)
	s_cmp_eq_u64 s[18:19], 0
	s_cselect_b64 s[2:3], -1, 0
	s_and_b64 vcc, exec, s[2:3]
	s_cbranch_vccnz .LBB3_4
; %bb.3:
	s_load_dword s2, s[18:19], 0x0
	s_waitcnt lgkmcnt(0)
	v_cmp_neq_f32_e64 s[2:3], s2, 1.0
.LBB3_4:
	s_andn2_b64 vcc, exec, s[2:3]
	s_cbranch_vccnz .LBB3_91
; %bb.5:
	s_load_dword s3, s[4:5], 0xdf8
	s_load_dword s2, s[0:1], 0x8c0
	s_waitcnt lgkmcnt(0)
	s_bitcmp1_b32 s3, 0
	s_cselect_b64 s[18:19], -1, 0
	s_and_b32 s0, s6, 0xff
	s_lshl_b32 s22, s0, 3
	s_load_dwordx2 s[0:1], s[4:5], s22 offset:0x600
	s_load_dwordx2 s[20:21], s[4:5], 0xdf0
	s_ashr_i32 s3, s2, 31
	s_lshl_b64 s[6:7], s[2:3], 16
	s_load_dwordx2 s[26:27], s[4:5], s22 offset:0x480
	s_waitcnt lgkmcnt(0)
	s_load_dword s23, s[0:1], 0x0
	s_load_dwordx2 s[34:35], s[4:5], s22 offset:0x0
	s_load_dwordx2 s[10:11], s[4:5], s22 offset:0x180
	;; [unrolled: 1-line block ×3, first 2 shown]
	s_sub_u32 s22, s26, s6
	s_waitcnt lgkmcnt(0)
	v_add_f32_e64 v1, s23, -1.0
	v_cvt_f64_f32_e32 v[4:5], v1
	v_fma_f64 v[4:5], v[4:5], s[12:13], 1.0
	v_div_scale_f64 v[6:7], s[0:1], v[4:5], v[4:5], v[2:3]
	v_rcp_f64_e32 v[8:9], v[6:7]
	s_subb_u32 s23, s27, s7
	s_lshl_b64 s[24:25], s[2:3], 17
	s_add_u32 s0, s10, s24
	s_or_b32 s0, s8, s0
	v_fma_f64 v[12:13], -v[6:7], v[8:9], 1.0
	s_and_b32 s2, s34, 7
	s_and_b32 s0, s0, 7
	v_fmac_f64_e32 v[8:9], v[8:9], v[12:13]
	s_cmp_lg_u32 s0, 0
	v_fma_f64 v[12:13], -v[6:7], v[8:9], 1.0
	s_cselect_b64 s[0:1], -1, 0
	s_and_b32 s3, s26, 3
	v_div_scale_f64 v[10:11], vcc, v[2:3], v[4:5], v[2:3]
	v_fmac_f64_e32 v[8:9], v[8:9], v[12:13]
	s_mov_b32 s13, 0
	s_or_b32 s12, s2, s3
	v_mul_f64 v[12:13], v[10:11], v[8:9]
	s_cmp_lg_u64 s[12:13], 0
	v_fma_f64 v[6:7], -v[6:7], v[12:13], v[10:11]
	s_cselect_b64 s[2:3], -1, 0
	v_div_fmas_f64 v[6:7], v[6:7], v[8:9], v[12:13]
	s_or_b64 s[0:1], s[0:1], s[2:3]
	v_div_fixup_f64 v[2:3], v[6:7], v[4:5], v[2:3]
	s_andn2_b64 vcc, exec, s[0:1]
	s_mov_b64 s[0:1], -1
	s_cbranch_vccz .LBB3_28
; %bb.6:
	v_mov_b32_e32 v5, 0
	v_lshlrev_b32_e32 v4, 2, v0
	v_cmp_gt_i64_e32 vcc, s[22:23], v[4:5]
	s_and_saveexec_b64 s[26:27], vcc
	s_cbranch_execz .LBB3_27
; %bb.7:
	s_load_dword s6, s[4:5], 0xe1c
	s_cmp_lg_u64 s[16:17], 0
	v_lshlrev_b32_e32 v1, 3, v0
	s_cselect_b64 s[2:3], -1, 0
	v_mov_b32_e32 v4, s25
	s_waitcnt lgkmcnt(0)
	s_and_b32 s6, s6, 0xffff
	v_add_co_u32_e32 v6, vcc, s24, v1
	v_addc_co_u32_e32 v1, vcc, 0, v4, vcc
	v_add_lshl_u32 v4, v0, s6, 2
	v_cndmask_b32_e64 v8, 0, 1, s[2:3]
	s_mov_b64 s[28:29], 0
	v_cmp_neq_f64_e64 s[0:1], s[14:15], 0
	s_lshl_b32 s12, s6, 3
	s_lshl_b32 s33, s6, 2
	s_mov_b32 s36, s13
	v_mov_b32_e32 v7, s35
	v_mov_b32_e32 v22, s11
	;; [unrolled: 1-line block ×3, first 2 shown]
	v_cmp_ne_u32_e64 s[2:3], 1, v8
	s_movk_i32 s37, 0x7fff
	s_mov_b32 s38, 0xf800000
	v_mov_b32_e32 v24, 0x260
	s_mov_b64 s[30:31], 0xffff
	v_mov_b32_e32 v25, 0x7fc0
	v_mov_b32_e32 v26, 0x7fc00000
	v_pk_mov_b32 v[8:9], v[4:5], v[4:5] op_sel:[0,1]
	s_branch .LBB3_9
.LBB3_8:                                ;   in Loop: Header=BB3_9 Depth=1
	v_bfe_u32 v12, v4, 16, 1
	v_add3_u32 v12, v4, v12, s37
	v_lshrrev_b32_e32 v12, 16, v12
	v_cmp_o_f32_e32 vcc, v4, v4
	v_cndmask_b32_e32 v4, v25, v12, vcc
	v_bfe_u32 v12, v27, 16, 1
	v_add3_u32 v12, v27, v12, s37
	v_and_b32_e32 v12, 0xffff0000, v12
	v_cmp_o_f32_e32 vcc, v27, v27
	v_cndmask_b32_e32 v12, v26, v12, vcc
	v_or_b32_e32 v4, v12, v4
	v_bfe_u32 v12, v18, 16, 1
	v_add3_u32 v12, v18, v12, s37
	v_bfe_u32 v13, v19, 16, 1
	v_lshrrev_b32_e32 v12, 16, v12
	v_cmp_o_f32_e32 vcc, v18, v18
	v_add3_u32 v13, v19, v13, s37
	v_cndmask_b32_e32 v12, v25, v12, vcc
	v_and_b32_e32 v13, 0xffff0000, v13
	v_cmp_o_f32_e32 vcc, v19, v19
	v_cndmask_b32_e32 v13, v26, v13, vcc
	v_cmp_le_i64_e32 vcc, s[22:23], v[8:9]
	v_cmp_lt_u64_e64 s[6:7], s[30:31], v[8:9]
	v_or3_b32 v13, 0, v12, v13
	v_or3_b32 v12, v4, 0, 0
	s_or_b64 s[6:7], vcc, s[6:7]
	v_mov_b32_e32 v4, s13
	v_add_co_u32_e32 v6, vcc, s12, v6
	v_addc_co_u32_e32 v1, vcc, v1, v4, vcc
	v_mov_b32_e32 v4, s36
	s_and_b64 s[6:7], exec, s[6:7]
	v_add_co_u32_e32 v8, vcc, s33, v8
	s_or_b64 s[28:29], s[6:7], s[28:29]
	v_addc_co_u32_e32 v9, vcc, v9, v4, vcc
	global_store_dwordx2 v[10:11], v[12:13], off
	s_andn2_b64 exec, exec, s[28:29]
	s_cbranch_execz .LBB3_27
.LBB3_9:                                ; =>This Inner Loop Header: Depth=1
	v_add_co_u32_e32 v12, vcc, s34, v6
	v_addc_co_u32_e32 v13, vcc, v7, v1, vcc
	v_add_co_u32_e32 v14, vcc, s10, v6
	v_addc_co_u32_e32 v15, vcc, v22, v1, vcc
	v_add_co_u32_e32 v10, vcc, s8, v6
	global_load_dwordx2 v[16:17], v[14:15], off
	v_addc_co_u32_e32 v11, vcc, v23, v1, vcc
	global_load_dwordx2 v[18:19], v[12:13], off
	global_load_dwordx2 v[20:21], v[10:11], off
	s_and_b64 vcc, exec, s[2:3]
	s_waitcnt vmcnt(2)
	v_lshlrev_b32_e32 v27, 16, v16
	s_cbranch_vccnz .LBB3_11
; %bb.10:                               ;   in Loop: Header=BB3_9 Depth=1
	global_load_dword v4, v5, s[16:17]
	s_waitcnt vmcnt(0)
	v_div_scale_f32 v28, s[6:7], v4, v4, v27
	v_rcp_f32_e32 v29, v28
	v_div_scale_f32 v30, vcc, v27, v4, v27
	v_fma_f32 v31, -v28, v29, 1.0
	v_fmac_f32_e32 v29, v31, v29
	v_mul_f32_e32 v31, v30, v29
	v_fma_f32 v32, -v28, v31, v30
	v_fmac_f32_e32 v31, v32, v29
	v_fma_f32 v28, -v28, v31, v30
	v_div_fmas_f32 v28, v28, v29, v31
	v_div_fixup_f32 v27, v28, v4, v27
.LBB3_11:                               ;   in Loop: Header=BB3_9 Depth=1
	s_and_b64 vcc, exec, s[2:3]
	s_cbranch_vccnz .LBB3_13
; %bb.12:                               ;   in Loop: Header=BB3_9 Depth=1
	v_bfe_u32 v4, v27, 16, 1
	v_add3_u32 v4, v27, v4, s37
	v_lshrrev_b32_e32 v4, 16, v4
	v_cmp_o_f32_e32 vcc, v27, v27
	v_cndmask_b32_e32 v4, v25, v4, vcc
	v_and_b32_e32 v16, 0xffff0000, v16
	v_or_b32_e32 v16, v4, v16
.LBB3_13:                               ;   in Loop: Header=BB3_9 Depth=1
	s_and_b64 vcc, exec, s[2:3]
	v_and_b32_e32 v29, 0xffff0000, v16
	s_cbranch_vccnz .LBB3_15
; %bb.14:                               ;   in Loop: Header=BB3_9 Depth=1
	global_load_dword v4, v5, s[16:17]
	s_waitcnt vmcnt(0)
	v_div_scale_f32 v28, s[6:7], v4, v4, v29
	v_rcp_f32_e32 v30, v28
	v_div_scale_f32 v31, vcc, v29, v4, v29
	v_fma_f32 v32, -v28, v30, 1.0
	v_fmac_f32_e32 v30, v32, v30
	v_mul_f32_e32 v32, v31, v30
	v_fma_f32 v33, -v28, v32, v31
	v_fmac_f32_e32 v32, v33, v30
	v_fma_f32 v28, -v28, v32, v31
	v_div_fmas_f32 v28, v28, v30, v32
	v_div_fixup_f32 v29, v28, v4, v29
.LBB3_15:                               ;   in Loop: Header=BB3_9 Depth=1
	s_and_b64 vcc, exec, s[2:3]
	s_cbranch_vccnz .LBB3_17
; %bb.16:                               ;   in Loop: Header=BB3_9 Depth=1
	v_bfe_u32 v4, v29, 16, 1
	v_add3_u32 v4, v29, v4, s37
	v_and_b32_e32 v4, 0xffff0000, v4
	v_cmp_o_f32_e32 vcc, v29, v29
	v_cndmask_b32_e32 v4, v26, v4, vcc
	v_and_b32_e32 v16, 0xffff, v16
	v_or_b32_e32 v16, v4, v16
.LBB3_17:                               ;   in Loop: Header=BB3_9 Depth=1
	v_alignbit_b32 v4, v17, v16, 16
	s_and_b64 vcc, exec, s[2:3]
	v_and_b32_e32 v30, 0xffff0000, v4
	s_cbranch_vccnz .LBB3_19
; %bb.18:                               ;   in Loop: Header=BB3_9 Depth=1
	global_load_dword v4, v5, s[16:17]
	s_waitcnt vmcnt(0)
	v_div_scale_f32 v28, s[6:7], v4, v4, v30
	v_rcp_f32_e32 v31, v28
	v_div_scale_f32 v32, vcc, v30, v4, v30
	v_fma_f32 v33, -v28, v31, 1.0
	v_fmac_f32_e32 v31, v33, v31
	v_mul_f32_e32 v33, v32, v31
	v_fma_f32 v34, -v28, v33, v32
	v_fmac_f32_e32 v33, v34, v31
	v_fma_f32 v28, -v28, v33, v32
	v_div_fmas_f32 v28, v28, v31, v33
	v_div_fixup_f32 v30, v28, v4, v30
.LBB3_19:                               ;   in Loop: Header=BB3_9 Depth=1
	s_and_b64 vcc, exec, s[2:3]
	s_cbranch_vccnz .LBB3_21
; %bb.20:                               ;   in Loop: Header=BB3_9 Depth=1
	v_bfe_u32 v4, v30, 16, 1
	v_add3_u32 v4, v30, v4, s37
	v_lshrrev_b32_e32 v4, 16, v4
	v_cmp_o_f32_e32 vcc, v30, v30
	v_cndmask_b32_e32 v4, v25, v4, vcc
	v_and_b32_e32 v17, 0xffff0000, v17
	v_or_b32_e32 v17, v4, v17
.LBB3_21:                               ;   in Loop: Header=BB3_9 Depth=1
	s_and_b64 vcc, exec, s[2:3]
	v_and_b32_e32 v28, 0xffff0000, v17
	s_cbranch_vccnz .LBB3_23
; %bb.22:                               ;   in Loop: Header=BB3_9 Depth=1
	global_load_dword v4, v5, s[16:17]
	s_waitcnt vmcnt(0)
	v_div_scale_f32 v31, s[6:7], v4, v4, v28
	v_rcp_f32_e32 v32, v31
	v_div_scale_f32 v33, vcc, v28, v4, v28
	v_fma_f32 v34, -v31, v32, 1.0
	v_fmac_f32_e32 v32, v34, v32
	v_mul_f32_e32 v34, v33, v32
	v_fma_f32 v35, -v31, v34, v33
	v_fmac_f32_e32 v34, v35, v32
	v_fma_f32 v31, -v31, v34, v33
	v_div_fmas_f32 v31, v31, v32, v34
	v_div_fixup_f32 v28, v31, v4, v28
.LBB3_23:                               ;   in Loop: Header=BB3_9 Depth=1
	s_and_b64 vcc, exec, s[2:3]
	s_cbranch_vccnz .LBB3_25
; %bb.24:                               ;   in Loop: Header=BB3_9 Depth=1
	v_bfe_u32 v4, v28, 16, 1
	v_add3_u32 v4, v28, v4, s37
	v_and_b32_e32 v4, 0xffff0000, v4
	v_cmp_o_f32_e32 vcc, v28, v28
	v_cndmask_b32_e32 v4, v26, v4, vcc
	v_and_b32_e32 v17, 0xffff, v17
	v_or_b32_e32 v17, v4, v17
.LBB3_25:                               ;   in Loop: Header=BB3_9 Depth=1
	s_waitcnt vmcnt(1)
	v_lshlrev_b32_e32 v31, 16, v18
	v_cndmask_b32_e64 v27, v27, -v27, s[18:19]
	v_cvt_f64_f32_e32 v[32:33], v31
	v_cvt_f64_f32_e32 v[34:35], v27
	v_fmac_f64_e32 v[34:35], s[14:15], v[32:33]
	v_cvt_f32_f64_e32 v31, v[34:35]
	v_cndmask_b32_e64 v38, v27, v31, s[0:1]
	v_and_b32_e32 v31, 0xffff0000, v18
	v_cndmask_b32_e64 v29, v29, -v29, s[18:19]
	v_cvt_f64_f32_e32 v[34:35], v31
	v_cvt_f64_f32_e32 v[36:37], v29
	v_fmac_f64_e32 v[36:37], s[14:15], v[34:35]
	v_cvt_f32_f64_e32 v31, v[36:37]
	v_alignbit_b32 v18, v19, v18, 16
	s_waitcnt vmcnt(0)
	v_lshlrev_b32_e32 v4, 16, v20
	v_and_b32_e32 v27, 0xffff0000, v20
	v_cndmask_b32_e64 v29, v29, v31, s[0:1]
	v_and_b32_e32 v31, 0xffff0000, v18
	v_alignbit_b32 v18, v21, v20, 16
	v_cndmask_b32_e64 v20, v30, -v30, s[18:19]
	v_cvt_f64_f32_e32 v[30:31], v31
	v_cvt_f64_f32_e32 v[36:37], v20
	v_fmac_f32_e32 v4, v38, v38
	v_fmac_f64_e32 v[36:37], s[14:15], v[30:31]
	v_cvt_f32_f64_e32 v36, v[36:37]
	v_mul_f32_e32 v37, 0x4f800000, v4
	v_cmp_gt_f32_e32 vcc, s38, v4
	v_cndmask_b32_e32 v39, v4, v37, vcc
	v_sqrt_f32_e32 v40, v39
	v_cndmask_b32_e64 v46, v20, v36, s[0:1]
	v_cvt_f64_f32_e32 v[36:37], v38
	v_mul_f64 v[36:37], v[2:3], v[36:37]
	v_add_u32_e32 v20, -1, v40
	v_fma_f32 v38, -v20, v40, v39
	v_cmp_ge_f32_e64 s[6:7], 0, v38
	v_add_u32_e32 v38, 1, v40
	v_cndmask_b32_e64 v20, v40, v20, s[6:7]
	v_fma_f32 v40, -v38, v40, v39
	v_cmp_lt_f32_e64 s[6:7], 0, v40
	v_cndmask_b32_e64 v20, v20, v38, s[6:7]
	v_mul_f32_e32 v38, 0x37800000, v20
	v_cndmask_b32_e32 v20, v20, v38, vcc
	v_cmp_class_f32_e32 vcc, v39, v24
	v_cndmask_b32_e32 v20, v20, v39, vcc
	v_cvt_f64_f32_e32 v[38:39], v20
	v_add_f64 v[38:39], v[38:39], s[20:21]
	v_div_scale_f64 v[40:41], s[6:7], v[38:39], v[38:39], v[36:37]
	v_rcp_f64_e32 v[42:43], v[40:41]
	v_and_b32_e32 v47, 0xffff0000, v19
	v_and_b32_e32 v19, 0xffff0000, v21
	v_fmac_f32_e32 v27, v29, v29
	v_fma_f64 v[20:21], -v[40:41], v[42:43], 1.0
	v_fmac_f64_e32 v[42:43], v[42:43], v[20:21]
	v_fma_f64 v[20:21], -v[40:41], v[42:43], 1.0
	v_fmac_f64_e32 v[42:43], v[42:43], v[20:21]
	v_div_scale_f64 v[20:21], vcc, v[36:37], v[38:39], v[36:37]
	v_mul_f64 v[44:45], v[20:21], v[42:43]
	v_fma_f64 v[20:21], -v[40:41], v[44:45], v[20:21]
	v_and_b32_e32 v18, 0xffff0000, v18
	s_nop 0
	v_div_fmas_f64 v[20:21], v[20:21], v[42:43], v[44:45]
	v_div_fixup_f64 v[20:21], v[20:21], v[38:39], v[36:37]
	v_add_f64 v[20:21], v[32:33], -v[20:21]
	v_cvt_f32_f64_e32 v40, v[20:21]
	v_mul_f32_e32 v21, 0x4f800000, v27
	v_cmp_gt_f32_e32 vcc, s38, v27
	v_cndmask_b32_e32 v32, v27, v21, vcc
	v_sqrt_f32_e32 v33, v32
	v_bfe_u32 v20, v40, 16, 1
	v_add3_u32 v41, v40, v20, s37
	v_cvt_f64_f32_e32 v[20:21], v29
	v_add_u32_e32 v29, -1, v33
	v_fma_f32 v36, -v29, v33, v32
	v_cmp_ge_f32_e64 s[6:7], 0, v36
	v_add_u32_e32 v36, 1, v33
	v_cndmask_b32_e64 v29, v33, v29, s[6:7]
	v_fma_f32 v33, -v36, v33, v32
	v_cmp_lt_f32_e64 s[6:7], 0, v33
	v_cndmask_b32_e64 v29, v29, v36, s[6:7]
	v_mul_f32_e32 v33, 0x37800000, v29
	v_cndmask_b32_e32 v29, v29, v33, vcc
	v_cmp_class_f32_e32 vcc, v32, v24
	v_cndmask_b32_e32 v29, v29, v32, vcc
	v_cvt_f64_f32_e32 v[32:33], v29
	v_mul_f64 v[20:21], v[2:3], v[20:21]
	v_add_f64 v[32:33], v[32:33], s[20:21]
	v_div_scale_f64 v[36:37], s[6:7], v[32:33], v[32:33], v[20:21]
	v_rcp_f64_e32 v[38:39], v[36:37]
	v_lshrrev_b32_e32 v29, 16, v41
	v_cmp_o_f32_e32 vcc, v40, v40
	v_cndmask_b32_e32 v29, v25, v29, vcc
	v_fma_f64 v[40:41], -v[36:37], v[38:39], 1.0
	v_fmac_f64_e32 v[38:39], v[38:39], v[40:41]
	v_fma_f64 v[40:41], -v[36:37], v[38:39], 1.0
	v_fmac_f64_e32 v[38:39], v[38:39], v[40:41]
	v_div_scale_f64 v[40:41], vcc, v[20:21], v[32:33], v[20:21]
	v_mul_f64 v[42:43], v[40:41], v[38:39]
	v_fma_f64 v[36:37], -v[36:37], v[42:43], v[40:41]
	v_fmac_f32_e32 v18, v46, v46
	s_nop 0
	v_div_fmas_f64 v[36:37], v[36:37], v[38:39], v[42:43]
	v_div_fixup_f64 v[20:21], v[36:37], v[32:33], v[20:21]
	v_add_f64 v[20:21], v[34:35], -v[20:21]
	v_cvt_f32_f64_e32 v38, v[20:21]
	v_mul_f32_e32 v21, 0x4f800000, v18
	v_cmp_gt_f32_e32 vcc, s38, v18
	v_cndmask_b32_e32 v32, v18, v21, vcc
	v_sqrt_f32_e32 v33, v32
	v_bfe_u32 v20, v38, 16, 1
	v_add3_u32 v20, v38, v20, s37
	v_and_b32_e32 v39, 0xffff0000, v20
	v_add_u32_e32 v34, -1, v33
	v_fma_f32 v35, -v34, v33, v32
	v_cmp_ge_f32_e64 s[6:7], 0, v35
	v_add_u32_e32 v35, 1, v33
	v_cndmask_b32_e64 v34, v33, v34, s[6:7]
	v_fma_f32 v33, -v35, v33, v32
	v_cmp_lt_f32_e64 s[6:7], 0, v33
	v_cndmask_b32_e64 v33, v34, v35, s[6:7]
	v_mul_f32_e32 v34, 0x37800000, v33
	v_cndmask_b32_e32 v33, v33, v34, vcc
	v_cmp_class_f32_e32 vcc, v32, v24
	v_cndmask_b32_e32 v32, v33, v32, vcc
	v_cvt_f64_f32_e32 v[20:21], v46
	v_cvt_f64_f32_e32 v[32:33], v32
	v_mul_f64 v[20:21], v[2:3], v[20:21]
	v_add_f64 v[32:33], v[32:33], s[20:21]
	v_div_scale_f64 v[34:35], s[6:7], v[32:33], v[32:33], v[20:21]
	v_rcp_f64_e32 v[36:37], v[34:35]
	v_cmp_o_f32_e32 vcc, v38, v38
	v_cndmask_b32_e32 v38, v26, v39, vcc
	v_or_b32_e32 v42, v38, v29
	v_fma_f64 v[38:39], -v[34:35], v[36:37], 1.0
	v_fmac_f64_e32 v[36:37], v[36:37], v[38:39]
	v_fma_f64 v[38:39], -v[34:35], v[36:37], 1.0
	v_fmac_f64_e32 v[36:37], v[36:37], v[38:39]
	v_div_scale_f64 v[38:39], vcc, v[20:21], v[32:33], v[20:21]
	v_mul_f64 v[40:41], v[38:39], v[36:37]
	v_fma_f64 v[34:35], -v[34:35], v[40:41], v[38:39]
	s_nop 1
	v_div_fmas_f64 v[34:35], v[34:35], v[36:37], v[40:41]
	v_div_fixup_f64 v[20:21], v[34:35], v[32:33], v[20:21]
	v_add_f64 v[20:21], v[30:31], -v[20:21]
	v_cndmask_b32_e64 v31, v28, -v28, s[18:19]
	v_cvt_f32_f64_e32 v36, v[20:21]
	v_cvt_f64_f32_e32 v[20:21], v47
	v_cvt_f64_f32_e32 v[28:29], v31
	v_fmac_f64_e32 v[28:29], s[14:15], v[20:21]
	v_cvt_f32_f64_e32 v28, v[28:29]
	v_cndmask_b32_e64 v28, v31, v28, s[0:1]
	v_fmac_f32_e32 v19, v28, v28
	v_mul_f32_e32 v29, 0x4f800000, v19
	v_cmp_gt_f32_e32 vcc, s38, v19
	v_cndmask_b32_e32 v31, v19, v29, vcc
	v_sqrt_f32_e32 v32, v31
	v_bfe_u32 v30, v36, 16, 1
	v_add3_u32 v37, v36, v30, s37
	v_cvt_f64_f32_e32 v[28:29], v28
	v_add_u32_e32 v30, -1, v32
	v_fma_f32 v33, -v30, v32, v31
	v_cmp_ge_f32_e64 s[6:7], 0, v33
	v_add_u32_e32 v33, 1, v32
	v_cndmask_b32_e64 v30, v32, v30, s[6:7]
	v_fma_f32 v32, -v33, v32, v31
	v_cmp_lt_f32_e64 s[6:7], 0, v32
	v_cndmask_b32_e64 v30, v30, v33, s[6:7]
	v_mul_f32_e32 v32, 0x37800000, v30
	v_cndmask_b32_e32 v30, v30, v32, vcc
	v_cmp_class_f32_e32 vcc, v31, v24
	v_cndmask_b32_e32 v30, v30, v31, vcc
	v_cvt_f64_f32_e32 v[30:31], v30
	v_mul_f64 v[28:29], v[2:3], v[28:29]
	v_add_f64 v[30:31], v[30:31], s[20:21]
	v_div_scale_f64 v[32:33], s[6:7], v[30:31], v[30:31], v[28:29]
	v_rcp_f64_e32 v[34:35], v[32:33]
	v_lshrrev_b32_e32 v37, 16, v37
	v_cmp_o_f32_e32 vcc, v36, v36
	v_cndmask_b32_e32 v40, v25, v37, vcc
	v_fma_f64 v[36:37], -v[32:33], v[34:35], 1.0
	v_fmac_f64_e32 v[34:35], v[34:35], v[36:37]
	v_fma_f64 v[36:37], -v[32:33], v[34:35], 1.0
	v_fmac_f64_e32 v[34:35], v[34:35], v[36:37]
	v_div_scale_f64 v[36:37], vcc, v[28:29], v[30:31], v[28:29]
	v_mul_f64 v[38:39], v[36:37], v[34:35]
	v_fma_f64 v[32:33], -v[32:33], v[38:39], v[36:37]
	s_nop 1
	v_div_fmas_f64 v[32:33], v[32:33], v[34:35], v[38:39]
	v_div_fixup_f64 v[28:29], v[32:33], v[30:31], v[28:29]
	v_add_f64 v[20:21], v[20:21], -v[28:29]
	v_cvt_f32_f64_e32 v20, v[20:21]
	v_bfe_u32 v21, v20, 16, 1
	v_add3_u32 v21, v20, v21, s37
	v_and_b32_e32 v21, 0xffff0000, v21
	v_cmp_o_f32_e32 vcc, v20, v20
	v_cndmask_b32_e32 v20, v26, v21, vcc
	v_or3_b32 v21, 0, v40, v20
	v_or3_b32 v20, v42, 0, 0
	s_and_b64 vcc, exec, s[2:3]
	global_store_dwordx2 v[12:13], v[20:21], off
	s_cbranch_vccnz .LBB3_8
; %bb.26:                               ;   in Loop: Header=BB3_9 Depth=1
	global_store_dwordx2 v[14:15], v[16:17], off
	s_branch .LBB3_8
.LBB3_27:
	s_or_b64 exec, exec, s[26:27]
	s_mov_b64 s[0:1], 0
.LBB3_28:
	s_andn2_b64 vcc, exec, s[0:1]
	s_cbranch_vccnz .LBB3_91
; %bb.29:
	v_cmp_lt_i64_e64 s[0:1], s[22:23], 1
	s_and_b64 vcc, exec, s[0:1]
	s_cbranch_vccnz .LBB3_91
; %bb.30:
	s_load_dword s0, s[4:5], 0xe1c
	v_mov_b32_e32 v6, 0x10000
	v_mov_b32_e32 v7, 0
	v_cmp_lt_u64_e32 vcc, s[22:23], v[6:7]
	v_lshlrev_b32_e32 v4, 1, v0
	s_waitcnt lgkmcnt(0)
	s_and_b32 s4, s0, 0xffff
	s_and_b64 s[0:1], vcc, exec
	v_mov_b32_e32 v23, s35
	v_add_co_u32_e32 v6, vcc, s34, v4
	v_addc_co_u32_e32 v1, vcc, 0, v23, vcc
	v_mov_b32_e32 v25, s11
	v_add_co_u32_e32 v8, vcc, s10, v4
	v_addc_co_u32_e32 v7, vcc, 0, v25, vcc
	v_mov_b32_e32 v5, 0
	v_mov_b32_e32 v27, s9
	v_add_co_u32_e32 v10, vcc, s8, v4
	v_addc_co_u32_e32 v9, vcc, 0, v27, vcc
	v_mad_u64_u32 v[16:17], s[2:3], s4, 6, v[4:5]
	v_add_co_u32_e32 v12, vcc, s34, v16
	v_addc_co_u32_e32 v11, vcc, v23, v17, vcc
	v_add_co_u32_e32 v14, vcc, s10, v16
	v_addc_co_u32_e32 v13, vcc, v25, v17, vcc
	s_cselect_b32 s27, s23, 0
	s_cselect_b32 s26, s22, 0x10000
	s_lshl_b32 s5, s4, 1
	v_add_co_u32_e32 v16, vcc, s8, v16
	s_mul_i32 s6, s4, 3
	s_cmp_lg_u64 s[16:17], 0
	v_addc_co_u32_e32 v15, vcc, v27, v17, vcc
	s_cselect_b64 s[30:31], -1, 0
	s_lshl_b32 s36, s4, 2
	v_add_co_u32_e32 v36, vcc, s6, v0
	v_addc_co_u32_e64 v37, s[2:3], 0, 0, vcc
	v_add_co_u32_e32 v4, vcc, s36, v4
	v_addc_co_u32_e64 v21, s[2:3], 0, 0, vcc
	v_add_co_u32_e32 v18, vcc, s34, v4
	v_addc_co_u32_e32 v17, vcc, v23, v21, vcc
	v_add_co_u32_e32 v20, vcc, s10, v4
	v_addc_co_u32_e32 v19, vcc, v25, v21, vcc
	;; [unrolled: 2-line block ×3, first 2 shown]
	v_add_co_u32_e32 v38, vcc, s5, v0
	v_addc_co_u32_e64 v39, s[2:3], 0, 0, vcc
	v_add_co_u32_e32 v40, vcc, s4, v0
	v_lshlrev_b32_e32 v4, 1, v40
	v_addc_co_u32_e64 v41, s[2:3], 0, 0, vcc
	v_add_co_u32_e32 v24, vcc, s34, v4
	v_addc_co_u32_e32 v23, vcc, 0, v23, vcc
	v_add_co_u32_e32 v26, vcc, s10, v4
	v_addc_co_u32_e32 v25, vcc, 0, v25, vcc
	v_add_co_u32_e32 v28, vcc, s8, v4
	s_mov_b32 s33, 0
	s_mov_b64 s[28:29], 0
	v_cmp_neq_f64_e64 s[0:1], s[14:15], 0
	s_lshl_b32 s37, s4, 3
	v_addc_co_u32_e32 v27, vcc, 0, v27, vcc
	s_movk_i32 s38, 0x7fff
	s_mov_b32 s39, 0xf800000
	v_mov_b32_e32 v42, 0x260
	v_mov_b32_e32 v43, 0x7fc0
	;; [unrolled: 1-line block ×3, first 2 shown]
	s_branch .LBB3_32
.LBB3_31:                               ;   in Loop: Header=BB3_32 Depth=1
	s_or_b64 exec, exec, s[2:3]
	s_add_u32 s28, s28, s36
	s_addc_u32 s29, s29, 0
	v_pk_mov_b32 v[30:31], s[22:23], s[22:23] op_sel:[0,1]
	v_cmp_ge_i64_e32 vcc, s[28:29], v[30:31]
	v_mov_b32_e32 v30, 0xffff
	v_mov_b32_e32 v31, 0
	v_cmp_gt_u64_e64 s[2:3], s[28:29], v[30:31]
	s_or_b64 s[2:3], vcc, s[2:3]
	v_mov_b32_e32 v4, s33
	v_add_co_u32_e32 v6, vcc, s37, v6
	v_addc_co_u32_e32 v1, vcc, v1, v4, vcc
	v_add_co_u32_e32 v8, vcc, s37, v8
	v_addc_co_u32_e32 v7, vcc, v7, v4, vcc
	;; [unrolled: 2-line block ×12, first 2 shown]
	s_and_b64 vcc, exec, s[2:3]
	s_cbranch_vccnz .LBB3_91
.LBB3_32:                               ; =>This Inner Loop Header: Depth=1
	v_mov_b32_e32 v4, s29
	v_add_co_u32_e32 v30, vcc, s28, v0
	v_addc_co_u32_e32 v31, vcc, 0, v4, vcc
	v_cmp_gt_u64_e64 s[2:3], s[26:27], v[30:31]
	v_pk_mov_b32 v[30:31], 0, 0
	v_pk_mov_b32 v[32:33], v[30:31], v[30:31] op_sel:[0,1]
	v_mov_b32_e32 v4, 0
	s_and_saveexec_b64 s[4:5], s[2:3]
	s_cbranch_execz .LBB3_34
; %bb.33:                               ;   in Loop: Header=BB3_32 Depth=1
	v_mov_b32_e32 v4, s25
	v_add_co_u32_e32 v32, vcc, s24, v6
	v_addc_co_u32_e32 v33, vcc, v1, v4, vcc
	global_load_ushort v29, v[32:33], off
	v_add_co_u32_e32 v32, vcc, s24, v8
	v_addc_co_u32_e32 v33, vcc, v7, v4, vcc
	global_load_ushort v4, v[32:33], off
	v_mov_b32_e32 v33, s33
	s_waitcnt vmcnt(1)
	v_and_b32_e32 v32, 0xffff, v29
.LBB3_34:                               ;   in Loop: Header=BB3_32 Depth=1
	s_or_b64 exec, exec, s[4:5]
	s_and_saveexec_b64 s[4:5], s[2:3]
	s_cbranch_execz .LBB3_36
; %bb.35:                               ;   in Loop: Header=BB3_32 Depth=1
	v_mov_b32_e32 v29, s25
	v_add_co_u32_e32 v30, vcc, s24, v10
	v_addc_co_u32_e32 v31, vcc, v9, v29, vcc
	global_load_ushort v29, v[30:31], off
	v_mov_b32_e32 v31, s33
	s_waitcnt vmcnt(0)
	v_and_b32_e32 v30, 0xffff, v29
.LBB3_36:                               ;   in Loop: Header=BB3_32 Depth=1
	s_or_b64 exec, exec, s[4:5]
	v_mov_b32_e32 v29, s29
	v_add_co_u32_e32 v34, vcc, s28, v40
	v_addc_co_u32_e32 v35, vcc, v41, v29, vcc
	v_cmp_gt_u64_e64 s[4:5], s[26:27], v[34:35]
	v_mov_b32_e32 v29, 0
	s_and_saveexec_b64 s[6:7], s[4:5]
	s_cbranch_execz .LBB3_38
; %bb.37:                               ;   in Loop: Header=BB3_32 Depth=1
	v_mov_b32_e32 v29, s25
	v_add_co_u32_e32 v34, vcc, s24, v24
	v_addc_co_u32_e32 v35, vcc, v23, v29, vcc
	global_load_ushort v45, v[34:35], off
	v_add_co_u32_e32 v34, vcc, s24, v26
	v_addc_co_u32_e32 v35, vcc, v25, v29, vcc
	global_load_ushort v29, v[34:35], off
	s_waitcnt vmcnt(1)
	v_lshl_or_b32 v32, v45, 16, v32
.LBB3_38:                               ;   in Loop: Header=BB3_32 Depth=1
	s_or_b64 exec, exec, s[6:7]
	s_and_saveexec_b64 s[6:7], s[4:5]
	s_cbranch_execz .LBB3_40
; %bb.39:                               ;   in Loop: Header=BB3_32 Depth=1
	v_mov_b32_e32 v35, s25
	v_add_co_u32_e32 v34, vcc, s24, v28
	v_addc_co_u32_e32 v35, vcc, v27, v35, vcc
	global_load_ushort v34, v[34:35], off
	s_waitcnt vmcnt(0)
	v_lshl_or_b32 v30, v34, 16, v30
.LBB3_40:                               ;   in Loop: Header=BB3_32 Depth=1
	s_or_b64 exec, exec, s[6:7]
	v_mov_b32_e32 v35, s29
	v_add_co_u32_e32 v34, vcc, s28, v38
	v_addc_co_u32_e32 v35, vcc, v39, v35, vcc
	v_cmp_gt_u64_e64 s[6:7], s[26:27], v[34:35]
	v_mov_b32_e32 v45, 0
	s_and_saveexec_b64 s[8:9], s[6:7]
	s_cbranch_execz .LBB3_42
; %bb.41:                               ;   in Loop: Header=BB3_32 Depth=1
	v_mov_b32_e32 v45, s25
	v_add_co_u32_e32 v34, vcc, s24, v18
	v_addc_co_u32_e32 v35, vcc, v17, v45, vcc
	global_load_ushort v46, v[34:35], off
	v_add_co_u32_e32 v34, vcc, s24, v20
	v_addc_co_u32_e32 v35, vcc, v19, v45, vcc
	global_load_ushort v45, v[34:35], off
	s_waitcnt vmcnt(1)
	v_or_b32_e32 v33, v46, v33
.LBB3_42:                               ;   in Loop: Header=BB3_32 Depth=1
	s_or_b64 exec, exec, s[8:9]
	s_and_saveexec_b64 s[8:9], s[6:7]
	s_cbranch_execz .LBB3_44
; %bb.43:                               ;   in Loop: Header=BB3_32 Depth=1
	v_mov_b32_e32 v35, s25
	v_add_co_u32_e32 v34, vcc, s24, v22
	v_addc_co_u32_e32 v35, vcc, v21, v35, vcc
	global_load_ushort v34, v[34:35], off
	s_waitcnt vmcnt(0)
	v_or_b32_e32 v31, v34, v31
.LBB3_44:                               ;   in Loop: Header=BB3_32 Depth=1
	s_or_b64 exec, exec, s[8:9]
	v_mov_b32_e32 v35, s29
	v_add_co_u32_e32 v34, vcc, s28, v36
	v_addc_co_u32_e32 v35, vcc, v37, v35, vcc
	v_cmp_gt_u64_e64 s[8:9], s[26:27], v[34:35]
	v_mov_b32_e32 v47, 0
	s_and_saveexec_b64 s[10:11], s[8:9]
	s_cbranch_execz .LBB3_46
; %bb.45:                               ;   in Loop: Header=BB3_32 Depth=1
	v_mov_b32_e32 v46, s25
	v_add_co_u32_e32 v34, vcc, s24, v12
	v_addc_co_u32_e32 v35, vcc, v11, v46, vcc
	global_load_ushort v48, v[34:35], off
	v_add_co_u32_e32 v34, vcc, s24, v14
	v_addc_co_u32_e32 v35, vcc, v13, v46, vcc
	global_load_ushort v47, v[34:35], off
	s_waitcnt vmcnt(1)
	v_lshlrev_b32_e32 v34, 16, v48
	v_or_b32_e32 v33, v34, v33
.LBB3_46:                               ;   in Loop: Header=BB3_32 Depth=1
	s_or_b64 exec, exec, s[10:11]
	s_and_saveexec_b64 s[10:11], s[8:9]
	s_cbranch_execz .LBB3_48
; %bb.47:                               ;   in Loop: Header=BB3_32 Depth=1
	v_mov_b32_e32 v35, s25
	v_add_co_u32_e32 v34, vcc, s24, v16
	v_addc_co_u32_e32 v35, vcc, v15, v35, vcc
	global_load_ushort v34, v[34:35], off
	s_waitcnt vmcnt(0)
	v_lshlrev_b32_e32 v34, 16, v34
	v_or_b32_e32 v31, v34, v31
.LBB3_48:                               ;   in Loop: Header=BB3_32 Depth=1
	s_or_b64 exec, exec, s[10:11]
	v_cndmask_b32_e64 v34, 0, 1, s[30:31]
	v_cmp_ne_u32_e64 s[10:11], 1, v34
	s_andn2_b64 vcc, exec, s[30:31]
	s_waitcnt vmcnt(0)
	v_lshlrev_b32_e32 v46, 16, v4
	s_cbranch_vccnz .LBB3_50
; %bb.49:                               ;   in Loop: Header=BB3_32 Depth=1
	s_load_dword s34, s[16:17], 0x0
	s_waitcnt lgkmcnt(0)
	v_div_scale_f32 v34, s[12:13], s34, s34, v46
	v_rcp_f32_e32 v35, v34
	v_div_scale_f32 v48, vcc, v46, s34, v46
	v_fma_f32 v49, -v34, v35, 1.0
	v_fmac_f32_e32 v35, v49, v35
	v_mul_f32_e32 v49, v48, v35
	v_fma_f32 v50, -v34, v49, v48
	v_fmac_f32_e32 v49, v50, v35
	v_fma_f32 v34, -v34, v49, v48
	v_div_fmas_f32 v34, v34, v35, v49
	v_div_fixup_f32 v46, v34, s34, v46
.LBB3_50:                               ;   in Loop: Header=BB3_32 Depth=1
	s_and_b64 vcc, exec, s[10:11]
	s_cbranch_vccnz .LBB3_52
; %bb.51:                               ;   in Loop: Header=BB3_32 Depth=1
	v_bfe_u32 v4, v46, 16, 1
	v_add3_u32 v4, v46, v4, s38
	v_lshrrev_b32_e32 v4, 16, v4
	v_cmp_o_f32_e32 vcc, v46, v46
	v_cndmask_b32_e32 v4, v43, v4, vcc
	v_pk_mov_b32 v[34:35], v[4:5], v[4:5] op_sel:[0,1]
	s_branch .LBB3_53
.LBB3_52:                               ;   in Loop: Header=BB3_32 Depth=1
	v_and_b32_e32 v34, 0xffff, v4
	v_mov_b32_e32 v35, s33
.LBB3_53:                               ;   in Loop: Header=BB3_32 Depth=1
	v_lshlrev_b32_e32 v4, 16, v29
	v_or_b32_e32 v4, v34, v4
	s_and_b64 vcc, exec, s[10:11]
	v_and_b32_e32 v49, 0xffff0000, v4
	s_cbranch_vccnz .LBB3_55
; %bb.54:                               ;   in Loop: Header=BB3_32 Depth=1
	s_load_dword s34, s[16:17], 0x0
	s_waitcnt lgkmcnt(0)
	v_div_scale_f32 v29, s[12:13], s34, s34, v49
	v_rcp_f32_e32 v34, v29
	v_div_scale_f32 v48, vcc, v49, s34, v49
	v_fma_f32 v50, -v29, v34, 1.0
	v_fmac_f32_e32 v34, v50, v34
	v_mul_f32_e32 v50, v48, v34
	v_fma_f32 v51, -v29, v50, v48
	v_fmac_f32_e32 v50, v51, v34
	v_fma_f32 v29, -v29, v50, v48
	v_div_fmas_f32 v29, v29, v34, v50
	v_div_fixup_f32 v49, v29, s34, v49
.LBB3_55:                               ;   in Loop: Header=BB3_32 Depth=1
	v_and_b32_e32 v29, 0xffff, v45
	v_lshlrev_b32_e32 v34, 16, v47
	v_or3_b32 v29, v34, v29, v35
	s_and_b64 vcc, exec, s[10:11]
	v_or3_b32 v4, 0, 0, v4
	s_cbranch_vccnz .LBB3_57
; %bb.56:                               ;   in Loop: Header=BB3_32 Depth=1
	v_bfe_u32 v34, v49, 16, 1
	v_add3_u32 v34, v49, v34, s38
	v_and_b32_e32 v34, 0xffff0000, v34
	v_cmp_o_f32_e32 vcc, v49, v49
	v_cndmask_b32_e32 v34, v44, v34, vcc
	v_or_b32_sdwa v4, v34, v4 dst_sel:DWORD dst_unused:UNUSED_PAD src0_sel:DWORD src1_sel:WORD_0
.LBB3_57:                               ;   in Loop: Header=BB3_32 Depth=1
	v_alignbit_b32 v34, v29, v4, 16
	s_and_b64 vcc, exec, s[10:11]
	v_and_b32_e32 v48, 0xffff0000, v34
	s_cbranch_vccnz .LBB3_59
; %bb.58:                               ;   in Loop: Header=BB3_32 Depth=1
	s_load_dword s34, s[16:17], 0x0
	s_waitcnt lgkmcnt(0)
	v_div_scale_f32 v34, s[12:13], s34, s34, v48
	v_rcp_f32_e32 v35, v34
	v_div_scale_f32 v45, vcc, v48, s34, v48
	v_fma_f32 v47, -v34, v35, 1.0
	v_fmac_f32_e32 v35, v47, v35
	v_mul_f32_e32 v47, v45, v35
	v_fma_f32 v50, -v34, v47, v45
	v_fmac_f32_e32 v47, v50, v35
	v_fma_f32 v34, -v34, v47, v45
	v_div_fmas_f32 v34, v34, v35, v47
	v_div_fixup_f32 v48, v34, s34, v48
.LBB3_59:                               ;   in Loop: Header=BB3_32 Depth=1
	s_and_b64 vcc, exec, s[10:11]
	s_cbranch_vccnz .LBB3_61
; %bb.60:                               ;   in Loop: Header=BB3_32 Depth=1
	v_bfe_u32 v34, v48, 16, 1
	v_add3_u32 v34, v48, v34, s38
	v_lshrrev_b32_e32 v34, 16, v34
	v_cmp_o_f32_e32 vcc, v48, v48
	v_cndmask_b32_e32 v34, v43, v34, vcc
	v_and_b32_e32 v29, 0xffff0000, v29
	v_or_b32_e32 v29, v34, v29
.LBB3_61:                               ;   in Loop: Header=BB3_32 Depth=1
	s_and_b64 vcc, exec, s[10:11]
	v_and_b32_e32 v47, 0xffff0000, v29
	s_cbranch_vccnz .LBB3_63
; %bb.62:                               ;   in Loop: Header=BB3_32 Depth=1
	s_load_dword s34, s[16:17], 0x0
	s_waitcnt lgkmcnt(0)
	v_div_scale_f32 v34, s[12:13], s34, s34, v47
	v_rcp_f32_e32 v35, v34
	v_div_scale_f32 v45, vcc, v47, s34, v47
	v_fma_f32 v50, -v34, v35, 1.0
	v_fmac_f32_e32 v35, v50, v35
	v_mul_f32_e32 v50, v45, v35
	v_fma_f32 v51, -v34, v50, v45
	v_fmac_f32_e32 v50, v51, v35
	v_fma_f32 v34, -v34, v50, v45
	v_div_fmas_f32 v34, v34, v35, v50
	v_div_fixup_f32 v47, v34, s34, v47
.LBB3_63:                               ;   in Loop: Header=BB3_32 Depth=1
	s_and_b64 vcc, exec, s[10:11]
	s_cbranch_vccnz .LBB3_65
; %bb.64:                               ;   in Loop: Header=BB3_32 Depth=1
	v_bfe_u32 v34, v47, 16, 1
	v_add3_u32 v34, v47, v34, s38
	v_and_b32_e32 v34, 0xffff0000, v34
	v_cmp_o_f32_e32 vcc, v47, v47
	v_cndmask_b32_e32 v34, v44, v34, vcc
	v_and_b32_e32 v29, 0xffff, v29
	v_or_b32_e32 v29, v34, v29
.LBB3_65:                               ;   in Loop: Header=BB3_32 Depth=1
	v_lshlrev_b32_e32 v34, 16, v32
	v_cndmask_b32_e64 v46, v46, -v46, s[18:19]
	v_cvt_f64_f32_e32 v[34:35], v34
	v_cvt_f64_f32_e32 v[50:51], v46
	v_fmac_f64_e32 v[50:51], s[14:15], v[34:35]
	v_cvt_f32_f64_e32 v50, v[50:51]
	v_lshlrev_b32_e32 v45, 16, v30
	v_cndmask_b32_e64 v46, v46, v50, s[0:1]
	v_fmac_f32_e32 v45, v46, v46
	s_and_saveexec_b64 s[34:35], s[2:3]
	s_cbranch_execz .LBB3_67
; %bb.66:                               ;   in Loop: Header=BB3_32 Depth=1
	v_mul_f32_e32 v50, 0x4f800000, v45
	v_cmp_gt_f32_e32 vcc, s39, v45
	v_cndmask_b32_e32 v52, v45, v50, vcc
	v_sqrt_f32_e32 v53, v52
	v_cvt_f64_f32_e32 v[50:51], v46
	v_mul_f64 v[50:51], v[2:3], v[50:51]
	v_add_u32_e32 v46, -1, v53
	v_fma_f32 v54, -v46, v53, v52
	v_cmp_ge_f32_e64 s[12:13], 0, v54
	v_add_u32_e32 v54, 1, v53
	v_cndmask_b32_e64 v46, v53, v46, s[12:13]
	v_fma_f32 v53, -v54, v53, v52
	v_cmp_lt_f32_e64 s[12:13], 0, v53
	v_cndmask_b32_e64 v46, v46, v54, s[12:13]
	v_mul_f32_e32 v53, 0x37800000, v46
	v_cndmask_b32_e32 v46, v46, v53, vcc
	v_cmp_class_f32_e32 vcc, v52, v42
	v_cndmask_b32_e32 v46, v46, v52, vcc
	v_cvt_f64_f32_e32 v[52:53], v46
	v_add_f64 v[52:53], v[52:53], s[20:21]
	v_div_scale_f64 v[54:55], s[12:13], v[52:53], v[52:53], v[50:51]
	v_rcp_f64_e32 v[56:57], v[54:55]
	v_fma_f64 v[58:59], -v[54:55], v[56:57], 1.0
	v_fmac_f64_e32 v[56:57], v[56:57], v[58:59]
	v_fma_f64 v[58:59], -v[54:55], v[56:57], 1.0
	v_fmac_f64_e32 v[56:57], v[56:57], v[58:59]
	v_div_scale_f64 v[58:59], vcc, v[50:51], v[52:53], v[50:51]
	v_mul_f64 v[60:61], v[58:59], v[56:57]
	v_fma_f64 v[54:55], -v[54:55], v[60:61], v[58:59]
	s_nop 1
	v_div_fmas_f64 v[54:55], v[54:55], v[56:57], v[60:61]
	v_div_fixup_f64 v[50:51], v[54:55], v[52:53], v[50:51]
	v_add_f64 v[34:35], v[34:35], -v[50:51]
	v_cvt_f32_f64_e32 v34, v[34:35]
	v_bfe_u32 v35, v34, 16, 1
	v_add3_u32 v35, v34, v35, s38
	v_lshrrev_b32_e32 v35, 16, v35
	v_cmp_o_f32_e32 vcc, v34, v34
	v_cndmask_b32_e32 v46, v43, v35, vcc
	v_mov_b32_e32 v35, s25
	v_add_co_u32_e32 v34, vcc, s24, v6
	v_addc_co_u32_e32 v35, vcc, v1, v35, vcc
	global_store_short v[34:35], v46, off
.LBB3_67:                               ;   in Loop: Header=BB3_32 Depth=1
	s_or_b64 exec, exec, s[34:35]
	v_and_b32_e32 v34, 0xffff0000, v32
	v_cndmask_b32_e64 v49, v49, -v49, s[18:19]
	v_cvt_f64_f32_e32 v[34:35], v34
	v_cvt_f64_f32_e32 v[50:51], v49
	v_fmac_f64_e32 v[50:51], s[14:15], v[34:35]
	v_cvt_f32_f64_e32 v50, v[50:51]
	v_and_b32_e32 v46, 0xffff0000, v30
	v_cndmask_b32_e64 v49, v49, v50, s[0:1]
	v_fmac_f32_e32 v46, v49, v49
	s_and_saveexec_b64 s[34:35], s[4:5]
	s_cbranch_execz .LBB3_69
; %bb.68:                               ;   in Loop: Header=BB3_32 Depth=1
	v_mul_f32_e32 v50, 0x4f800000, v46
	v_cmp_gt_f32_e32 vcc, s39, v46
	v_cndmask_b32_e32 v52, v46, v50, vcc
	v_sqrt_f32_e32 v53, v52
	v_cvt_f64_f32_e32 v[50:51], v49
	v_mul_f64 v[50:51], v[2:3], v[50:51]
	v_add_u32_e32 v49, -1, v53
	v_fma_f32 v54, -v49, v53, v52
	v_cmp_ge_f32_e64 s[12:13], 0, v54
	v_add_u32_e32 v54, 1, v53
	v_cndmask_b32_e64 v49, v53, v49, s[12:13]
	v_fma_f32 v53, -v54, v53, v52
	v_cmp_lt_f32_e64 s[12:13], 0, v53
	v_cndmask_b32_e64 v49, v49, v54, s[12:13]
	v_mul_f32_e32 v53, 0x37800000, v49
	v_cndmask_b32_e32 v49, v49, v53, vcc
	v_cmp_class_f32_e32 vcc, v52, v42
	v_cndmask_b32_e32 v49, v49, v52, vcc
	v_cvt_f64_f32_e32 v[52:53], v49
	v_add_f64 v[52:53], v[52:53], s[20:21]
	v_div_scale_f64 v[54:55], s[12:13], v[52:53], v[52:53], v[50:51]
	v_rcp_f64_e32 v[56:57], v[54:55]
	v_fma_f64 v[58:59], -v[54:55], v[56:57], 1.0
	v_fmac_f64_e32 v[56:57], v[56:57], v[58:59]
	v_fma_f64 v[58:59], -v[54:55], v[56:57], 1.0
	v_fmac_f64_e32 v[56:57], v[56:57], v[58:59]
	v_div_scale_f64 v[58:59], vcc, v[50:51], v[52:53], v[50:51]
	v_mul_f64 v[60:61], v[58:59], v[56:57]
	v_fma_f64 v[54:55], -v[54:55], v[60:61], v[58:59]
	s_nop 1
	v_div_fmas_f64 v[54:55], v[54:55], v[56:57], v[60:61]
	v_div_fixup_f64 v[50:51], v[54:55], v[52:53], v[50:51]
	v_add_f64 v[34:35], v[34:35], -v[50:51]
	v_cvt_f32_f64_e32 v34, v[34:35]
	v_bfe_u32 v35, v34, 16, 1
	v_add3_u32 v35, v34, v35, s38
	v_lshrrev_b32_e32 v35, 16, v35
	v_cmp_o_f32_e32 vcc, v34, v34
	v_cndmask_b32_e32 v49, v43, v35, vcc
	v_mov_b32_e32 v35, s25
	v_add_co_u32_e32 v34, vcc, s24, v24
	v_addc_co_u32_e32 v35, vcc, v23, v35, vcc
	global_store_short v[34:35], v49, off
.LBB3_69:                               ;   in Loop: Header=BB3_32 Depth=1
	s_or_b64 exec, exec, s[34:35]
	v_alignbit_b32 v32, v33, v32, 16
	v_alignbit_b32 v30, v31, v30, 16
	v_and_b32_e32 v34, 0xffff0000, v32
	v_and_b32_e32 v32, 0xffff0000, v30
	v_cndmask_b32_e64 v30, v48, -v48, s[18:19]
	v_cvt_f64_f32_e32 v[34:35], v34
	v_cvt_f64_f32_e32 v[48:49], v30
	v_fmac_f64_e32 v[48:49], s[14:15], v[34:35]
	v_cvt_f32_f64_e32 v48, v[48:49]
	v_cndmask_b32_e64 v30, v30, v48, s[0:1]
	v_fmac_f32_e32 v32, v30, v30
	s_and_saveexec_b64 s[34:35], s[6:7]
	s_cbranch_execz .LBB3_71
; %bb.70:                               ;   in Loop: Header=BB3_32 Depth=1
	v_mul_f32_e32 v48, 0x4f800000, v32
	v_cmp_gt_f32_e32 vcc, s39, v32
	v_cndmask_b32_e32 v50, v32, v48, vcc
	v_sqrt_f32_e32 v51, v50
	v_cvt_f64_f32_e32 v[48:49], v30
	v_mul_f64 v[48:49], v[2:3], v[48:49]
	v_add_u32_e32 v30, -1, v51
	v_fma_f32 v52, -v30, v51, v50
	v_cmp_ge_f32_e64 s[12:13], 0, v52
	v_add_u32_e32 v52, 1, v51
	v_cndmask_b32_e64 v30, v51, v30, s[12:13]
	v_fma_f32 v51, -v52, v51, v50
	v_cmp_lt_f32_e64 s[12:13], 0, v51
	v_cndmask_b32_e64 v30, v30, v52, s[12:13]
	v_mul_f32_e32 v51, 0x37800000, v30
	v_cndmask_b32_e32 v30, v30, v51, vcc
	v_cmp_class_f32_e32 vcc, v50, v42
	v_cndmask_b32_e32 v30, v30, v50, vcc
	v_cvt_f64_f32_e32 v[50:51], v30
	v_add_f64 v[50:51], v[50:51], s[20:21]
	v_div_scale_f64 v[52:53], s[12:13], v[50:51], v[50:51], v[48:49]
	v_rcp_f64_e32 v[54:55], v[52:53]
	v_fma_f64 v[56:57], -v[52:53], v[54:55], 1.0
	v_fmac_f64_e32 v[54:55], v[54:55], v[56:57]
	v_fma_f64 v[56:57], -v[52:53], v[54:55], 1.0
	v_fmac_f64_e32 v[54:55], v[54:55], v[56:57]
	v_div_scale_f64 v[56:57], vcc, v[48:49], v[50:51], v[48:49]
	v_mul_f64 v[58:59], v[56:57], v[54:55]
	v_fma_f64 v[52:53], -v[52:53], v[58:59], v[56:57]
	s_nop 1
	v_div_fmas_f64 v[52:53], v[52:53], v[54:55], v[58:59]
	v_div_fixup_f64 v[48:49], v[52:53], v[50:51], v[48:49]
	v_add_f64 v[34:35], v[34:35], -v[48:49]
	v_cvt_f32_f64_e32 v30, v[34:35]
	v_bfe_u32 v34, v30, 16, 1
	v_add3_u32 v34, v30, v34, s38
	v_lshrrev_b32_e32 v34, 16, v34
	v_cmp_o_f32_e32 vcc, v30, v30
	v_cndmask_b32_e32 v30, v43, v34, vcc
	v_mov_b32_e32 v35, s25
	v_add_co_u32_e32 v34, vcc, s24, v18
	v_addc_co_u32_e32 v35, vcc, v17, v35, vcc
	global_store_short v[34:35], v30, off
.LBB3_71:                               ;   in Loop: Header=BB3_32 Depth=1
	s_or_b64 exec, exec, s[34:35]
	v_and_b32_e32 v30, 0xffff0000, v33
	v_cndmask_b32_e64 v47, v47, -v47, s[18:19]
	v_and_b32_e32 v33, 0xffff0000, v31
	v_cvt_f64_f32_e32 v[30:31], v30
	v_cvt_f64_f32_e32 v[34:35], v47
	v_fmac_f64_e32 v[34:35], s[14:15], v[30:31]
	v_cvt_f32_f64_e32 v34, v[34:35]
	v_cndmask_b32_e64 v34, v47, v34, s[0:1]
	v_fmac_f32_e32 v33, v34, v34
	s_and_saveexec_b64 s[34:35], s[8:9]
	s_cbranch_execz .LBB3_73
; %bb.72:                               ;   in Loop: Header=BB3_32 Depth=1
	v_mul_f32_e32 v35, 0x4f800000, v33
	v_cmp_gt_f32_e32 vcc, s39, v33
	v_cndmask_b32_e32 v47, v33, v35, vcc
	v_sqrt_f32_e32 v48, v47
	v_cvt_f64_f32_e32 v[34:35], v34
	v_mul_f64 v[34:35], v[2:3], v[34:35]
	v_add_u32_e32 v49, -1, v48
	v_fma_f32 v50, -v49, v48, v47
	v_cmp_ge_f32_e64 s[12:13], 0, v50
	v_add_u32_e32 v50, 1, v48
	v_cndmask_b32_e64 v49, v48, v49, s[12:13]
	v_fma_f32 v48, -v50, v48, v47
	v_cmp_lt_f32_e64 s[12:13], 0, v48
	v_cndmask_b32_e64 v48, v49, v50, s[12:13]
	v_mul_f32_e32 v49, 0x37800000, v48
	v_cndmask_b32_e32 v48, v48, v49, vcc
	v_cmp_class_f32_e32 vcc, v47, v42
	v_cndmask_b32_e32 v47, v48, v47, vcc
	v_cvt_f64_f32_e32 v[48:49], v47
	v_add_f64 v[48:49], v[48:49], s[20:21]
	v_div_scale_f64 v[50:51], s[12:13], v[48:49], v[48:49], v[34:35]
	v_rcp_f64_e32 v[52:53], v[50:51]
	v_fma_f64 v[54:55], -v[50:51], v[52:53], 1.0
	v_fmac_f64_e32 v[52:53], v[52:53], v[54:55]
	v_fma_f64 v[54:55], -v[50:51], v[52:53], 1.0
	v_fmac_f64_e32 v[52:53], v[52:53], v[54:55]
	v_div_scale_f64 v[54:55], vcc, v[34:35], v[48:49], v[34:35]
	v_mul_f64 v[56:57], v[54:55], v[52:53]
	v_fma_f64 v[50:51], -v[50:51], v[56:57], v[54:55]
	s_nop 1
	v_div_fmas_f64 v[50:51], v[50:51], v[52:53], v[56:57]
	v_div_fixup_f64 v[34:35], v[50:51], v[48:49], v[34:35]
	v_add_f64 v[30:31], v[30:31], -v[34:35]
	v_cvt_f32_f64_e32 v30, v[30:31]
	v_bfe_u32 v31, v30, 16, 1
	v_add3_u32 v31, v30, v31, s38
	v_lshrrev_b32_e32 v31, 16, v31
	v_cmp_o_f32_e32 vcc, v30, v30
	v_cndmask_b32_e32 v34, v43, v31, vcc
	v_mov_b32_e32 v31, s25
	v_add_co_u32_e32 v30, vcc, s24, v12
	v_addc_co_u32_e32 v31, vcc, v11, v31, vcc
	global_store_short v[30:31], v34, off
.LBB3_73:                               ;   in Loop: Header=BB3_32 Depth=1
	s_or_b64 exec, exec, s[34:35]
	s_and_b64 vcc, exec, s[10:11]
	s_cbranch_vccnz .LBB3_80
; %bb.74:                               ;   in Loop: Header=BB3_32 Depth=1
	s_and_saveexec_b64 s[10:11], s[2:3]
	s_cbranch_execnz .LBB3_88
; %bb.75:                               ;   in Loop: Header=BB3_32 Depth=1
	s_or_b64 exec, exec, s[10:11]
	s_and_saveexec_b64 s[10:11], s[4:5]
	s_cbranch_execnz .LBB3_89
.LBB3_76:                               ;   in Loop: Header=BB3_32 Depth=1
	s_or_b64 exec, exec, s[10:11]
	s_and_saveexec_b64 s[10:11], s[6:7]
	s_cbranch_execnz .LBB3_90
.LBB3_77:                               ;   in Loop: Header=BB3_32 Depth=1
	s_or_b64 exec, exec, s[10:11]
	s_and_saveexec_b64 s[10:11], s[8:9]
	s_cbranch_execz .LBB3_79
.LBB3_78:                               ;   in Loop: Header=BB3_32 Depth=1
	v_mov_b32_e32 v4, s25
	v_add_co_u32_e32 v30, vcc, s24, v14
	v_addc_co_u32_e32 v31, vcc, v13, v4, vcc
	global_store_short_d16_hi v[30:31], v29, off
.LBB3_79:                               ;   in Loop: Header=BB3_32 Depth=1
	s_or_b64 exec, exec, s[10:11]
.LBB3_80:                               ;   in Loop: Header=BB3_32 Depth=1
	s_and_saveexec_b64 s[10:11], s[2:3]
	s_cbranch_execnz .LBB3_84
; %bb.81:                               ;   in Loop: Header=BB3_32 Depth=1
	s_or_b64 exec, exec, s[10:11]
	s_and_saveexec_b64 s[2:3], s[4:5]
	s_cbranch_execnz .LBB3_85
.LBB3_82:                               ;   in Loop: Header=BB3_32 Depth=1
	s_or_b64 exec, exec, s[2:3]
	s_and_saveexec_b64 s[2:3], s[6:7]
	s_cbranch_execnz .LBB3_86
.LBB3_83:                               ;   in Loop: Header=BB3_32 Depth=1
	s_or_b64 exec, exec, s[2:3]
	s_and_saveexec_b64 s[2:3], s[8:9]
	s_cbranch_execz .LBB3_31
	s_branch .LBB3_87
.LBB3_84:                               ;   in Loop: Header=BB3_32 Depth=1
	v_bfe_u32 v4, v45, 16, 1
	v_add3_u32 v4, v45, v4, s38
	v_lshrrev_b32_e32 v4, 16, v4
	v_cmp_o_f32_e32 vcc, v45, v45
	v_cndmask_b32_e32 v4, v43, v4, vcc
	v_mov_b32_e32 v29, s25
	v_add_co_u32_e32 v30, vcc, s24, v10
	v_addc_co_u32_e32 v31, vcc, v9, v29, vcc
	global_store_short v[30:31], v4, off
	s_or_b64 exec, exec, s[10:11]
	s_and_saveexec_b64 s[2:3], s[4:5]
	s_cbranch_execz .LBB3_82
.LBB3_85:                               ;   in Loop: Header=BB3_32 Depth=1
	v_bfe_u32 v4, v46, 16, 1
	v_add3_u32 v4, v46, v4, s38
	v_lshrrev_b32_e32 v4, 16, v4
	v_cmp_o_f32_e32 vcc, v46, v46
	v_cndmask_b32_e32 v4, v43, v4, vcc
	v_mov_b32_e32 v29, s25
	v_add_co_u32_e32 v30, vcc, s24, v28
	v_addc_co_u32_e32 v31, vcc, v27, v29, vcc
	global_store_short v[30:31], v4, off
	s_or_b64 exec, exec, s[2:3]
	s_and_saveexec_b64 s[2:3], s[6:7]
	s_cbranch_execz .LBB3_83
.LBB3_86:                               ;   in Loop: Header=BB3_32 Depth=1
	v_bfe_u32 v4, v32, 16, 1
	v_add3_u32 v4, v32, v4, s38
	v_lshrrev_b32_e32 v4, 16, v4
	v_cmp_o_f32_e32 vcc, v32, v32
	v_cndmask_b32_e32 v4, v43, v4, vcc
	v_mov_b32_e32 v29, s25
	v_add_co_u32_e32 v30, vcc, s24, v22
	v_addc_co_u32_e32 v31, vcc, v21, v29, vcc
	global_store_short v[30:31], v4, off
	s_or_b64 exec, exec, s[2:3]
	s_and_saveexec_b64 s[2:3], s[8:9]
	s_cbranch_execz .LBB3_31
.LBB3_87:                               ;   in Loop: Header=BB3_32 Depth=1
	v_bfe_u32 v4, v33, 16, 1
	v_add3_u32 v4, v33, v4, s38
	v_lshrrev_b32_e32 v4, 16, v4
	v_cmp_o_f32_e32 vcc, v33, v33
	v_cndmask_b32_e32 v4, v43, v4, vcc
	v_mov_b32_e32 v29, s25
	v_add_co_u32_e32 v30, vcc, s24, v16
	v_addc_co_u32_e32 v31, vcc, v15, v29, vcc
	global_store_short v[30:31], v4, off
	s_branch .LBB3_31
.LBB3_88:                               ;   in Loop: Header=BB3_32 Depth=1
	v_mov_b32_e32 v31, s25
	v_add_co_u32_e32 v30, vcc, s24, v8
	v_addc_co_u32_e32 v31, vcc, v7, v31, vcc
	global_store_short v[30:31], v4, off
	s_or_b64 exec, exec, s[10:11]
	s_and_saveexec_b64 s[10:11], s[4:5]
	s_cbranch_execz .LBB3_76
.LBB3_89:                               ;   in Loop: Header=BB3_32 Depth=1
	v_mov_b32_e32 v31, s25
	v_add_co_u32_e32 v30, vcc, s24, v26
	v_addc_co_u32_e32 v31, vcc, v25, v31, vcc
	global_store_short_d16_hi v[30:31], v4, off
	s_or_b64 exec, exec, s[10:11]
	s_and_saveexec_b64 s[10:11], s[6:7]
	s_cbranch_execz .LBB3_77
.LBB3_90:                               ;   in Loop: Header=BB3_32 Depth=1
	v_mov_b32_e32 v4, s25
	v_add_co_u32_e32 v30, vcc, s24, v20
	v_addc_co_u32_e32 v31, vcc, v19, v4, vcc
	global_store_short v[30:31], v29, off
	s_or_b64 exec, exec, s[10:11]
	s_and_saveexec_b64 s[10:11], s[8:9]
	s_cbranch_execnz .LBB3_78
	s_branch .LBB3_79
.LBB3_91:
	s_endpgm
	.section	.rodata,"a",@progbits
	.p2align	6, 0x0
	.amdhsa_kernel _ZN2at6native12_GLOBAL__N_125multi_tensor_apply_kernelINS1_32FusedOptimizerTensorListMetadataILi3EEENS1_23FusedAdagradMathFunctorIN3c108BFloat16EEEJPKfddddbSA_SA_EEEvT_T0_DpT1_
		.amdhsa_group_segment_fixed_size 0
		.amdhsa_private_segment_fixed_size 0
		.amdhsa_kernarg_size 3856
		.amdhsa_user_sgpr_count 6
		.amdhsa_user_sgpr_private_segment_buffer 1
		.amdhsa_user_sgpr_dispatch_ptr 0
		.amdhsa_user_sgpr_queue_ptr 0
		.amdhsa_user_sgpr_kernarg_segment_ptr 1
		.amdhsa_user_sgpr_dispatch_id 0
		.amdhsa_user_sgpr_flat_scratch_init 0
		.amdhsa_user_sgpr_kernarg_preload_length 0
		.amdhsa_user_sgpr_kernarg_preload_offset 0
		.amdhsa_user_sgpr_private_segment_size 0
		.amdhsa_uses_dynamic_stack 0
		.amdhsa_system_sgpr_private_segment_wavefront_offset 0
		.amdhsa_system_sgpr_workgroup_id_x 1
		.amdhsa_system_sgpr_workgroup_id_y 0
		.amdhsa_system_sgpr_workgroup_id_z 0
		.amdhsa_system_sgpr_workgroup_info 0
		.amdhsa_system_vgpr_workitem_id 0
		.amdhsa_next_free_vgpr 62
		.amdhsa_next_free_sgpr 40
		.amdhsa_accum_offset 64
		.amdhsa_reserve_vcc 1
		.amdhsa_reserve_flat_scratch 0
		.amdhsa_float_round_mode_32 0
		.amdhsa_float_round_mode_16_64 0
		.amdhsa_float_denorm_mode_32 3
		.amdhsa_float_denorm_mode_16_64 3
		.amdhsa_dx10_clamp 1
		.amdhsa_ieee_mode 1
		.amdhsa_fp16_overflow 0
		.amdhsa_tg_split 0
		.amdhsa_exception_fp_ieee_invalid_op 0
		.amdhsa_exception_fp_denorm_src 0
		.amdhsa_exception_fp_ieee_div_zero 0
		.amdhsa_exception_fp_ieee_overflow 0
		.amdhsa_exception_fp_ieee_underflow 0
		.amdhsa_exception_fp_ieee_inexact 0
		.amdhsa_exception_int_div_zero 0
	.end_amdhsa_kernel
	.section	.text._ZN2at6native12_GLOBAL__N_125multi_tensor_apply_kernelINS1_32FusedOptimizerTensorListMetadataILi3EEENS1_23FusedAdagradMathFunctorIN3c108BFloat16EEEJPKfddddbSA_SA_EEEvT_T0_DpT1_,"axG",@progbits,_ZN2at6native12_GLOBAL__N_125multi_tensor_apply_kernelINS1_32FusedOptimizerTensorListMetadataILi3EEENS1_23FusedAdagradMathFunctorIN3c108BFloat16EEEJPKfddddbSA_SA_EEEvT_T0_DpT1_,comdat
.Lfunc_end3:
	.size	_ZN2at6native12_GLOBAL__N_125multi_tensor_apply_kernelINS1_32FusedOptimizerTensorListMetadataILi3EEENS1_23FusedAdagradMathFunctorIN3c108BFloat16EEEJPKfddddbSA_SA_EEEvT_T0_DpT1_, .Lfunc_end3-_ZN2at6native12_GLOBAL__N_125multi_tensor_apply_kernelINS1_32FusedOptimizerTensorListMetadataILi3EEENS1_23FusedAdagradMathFunctorIN3c108BFloat16EEEJPKfddddbSA_SA_EEEvT_T0_DpT1_
                                        ; -- End function
	.section	.AMDGPU.csdata,"",@progbits
; Kernel info:
; codeLenInByte = 6160
; NumSgprs: 44
; NumVgprs: 62
; NumAgprs: 0
; TotalNumVgprs: 62
; ScratchSize: 0
; MemoryBound: 0
; FloatMode: 240
; IeeeMode: 1
; LDSByteSize: 0 bytes/workgroup (compile time only)
; SGPRBlocks: 5
; VGPRBlocks: 7
; NumSGPRsForWavesPerEU: 44
; NumVGPRsForWavesPerEU: 62
; AccumOffset: 64
; Occupancy: 8
; WaveLimiterHint : 0
; COMPUTE_PGM_RSRC2:SCRATCH_EN: 0
; COMPUTE_PGM_RSRC2:USER_SGPR: 6
; COMPUTE_PGM_RSRC2:TRAP_HANDLER: 0
; COMPUTE_PGM_RSRC2:TGID_X_EN: 1
; COMPUTE_PGM_RSRC2:TGID_Y_EN: 0
; COMPUTE_PGM_RSRC2:TGID_Z_EN: 0
; COMPUTE_PGM_RSRC2:TIDIG_COMP_CNT: 0
; COMPUTE_PGM_RSRC3_GFX90A:ACCUM_OFFSET: 15
; COMPUTE_PGM_RSRC3_GFX90A:TG_SPLIT: 0
	.text
	.p2alignl 6, 3212836864
	.fill 256, 4, 3212836864
	.type	__hip_cuid_5001e49975646924,@object ; @__hip_cuid_5001e49975646924
	.section	.bss,"aw",@nobits
	.globl	__hip_cuid_5001e49975646924
__hip_cuid_5001e49975646924:
	.byte	0                               ; 0x0
	.size	__hip_cuid_5001e49975646924, 1

	.ident	"AMD clang version 19.0.0git (https://github.com/RadeonOpenCompute/llvm-project roc-6.4.0 25133 c7fe45cf4b819c5991fe208aaa96edf142730f1d)"
	.section	".note.GNU-stack","",@progbits
	.addrsig
	.addrsig_sym __hip_cuid_5001e49975646924
	.amdgpu_metadata
---
amdhsa.kernels:
  - .agpr_count:     0
    .args:
      - .offset:         0
        .size:           3528
        .value_kind:     by_value
      - .offset:         3528
        .size:           1
        .value_kind:     by_value
      - .address_space:  global
        .offset:         3536
        .size:           8
        .value_kind:     global_buffer
      - .offset:         3544
        .size:           8
        .value_kind:     by_value
      - .offset:         3552
        .size:           8
        .value_kind:     by_value
      - .offset:         3560
        .size:           8
        .value_kind:     by_value
      - .offset:         3568
        .size:           8
        .value_kind:     by_value
      - .offset:         3576
        .size:           1
        .value_kind:     by_value
      - .address_space:  global
        .offset:         3584
        .size:           8
        .value_kind:     global_buffer
      - .address_space:  global
        .offset:         3592
        .size:           8
        .value_kind:     global_buffer
      - .offset:         3600
        .size:           4
        .value_kind:     hidden_block_count_x
      - .offset:         3604
        .size:           4
        .value_kind:     hidden_block_count_y
      - .offset:         3608
        .size:           4
        .value_kind:     hidden_block_count_z
      - .offset:         3612
        .size:           2
        .value_kind:     hidden_group_size_x
      - .offset:         3614
        .size:           2
        .value_kind:     hidden_group_size_y
      - .offset:         3616
        .size:           2
        .value_kind:     hidden_group_size_z
      - .offset:         3618
        .size:           2
        .value_kind:     hidden_remainder_x
      - .offset:         3620
        .size:           2
        .value_kind:     hidden_remainder_y
      - .offset:         3622
        .size:           2
        .value_kind:     hidden_remainder_z
      - .offset:         3640
        .size:           8
        .value_kind:     hidden_global_offset_x
      - .offset:         3648
        .size:           8
        .value_kind:     hidden_global_offset_y
      - .offset:         3656
        .size:           8
        .value_kind:     hidden_global_offset_z
      - .offset:         3664
        .size:           2
        .value_kind:     hidden_grid_dims
    .group_segment_fixed_size: 0
    .kernarg_segment_align: 8
    .kernarg_segment_size: 3856
    .language:       OpenCL C
    .language_version:
      - 2
      - 0
    .max_flat_workgroup_size: 512
    .name:           _ZN2at6native12_GLOBAL__N_125multi_tensor_apply_kernelINS1_32FusedOptimizerTensorListMetadataILi3EEENS1_23FusedAdagradMathFunctorIdEEJPKfddddbS8_S8_EEEvT_T0_DpT1_
    .private_segment_fixed_size: 0
    .sgpr_count:     48
    .sgpr_spill_count: 0
    .symbol:         _ZN2at6native12_GLOBAL__N_125multi_tensor_apply_kernelINS1_32FusedOptimizerTensorListMetadataILi3EEENS1_23FusedAdagradMathFunctorIdEEJPKfddddbS8_S8_EEEvT_T0_DpT1_.kd
    .uniform_work_group_size: 1
    .uses_dynamic_stack: false
    .vgpr_count:     72
    .vgpr_spill_count: 0
    .wavefront_size: 64
  - .agpr_count:     0
    .args:
      - .offset:         0
        .size:           3528
        .value_kind:     by_value
      - .offset:         3528
        .size:           1
        .value_kind:     by_value
      - .address_space:  global
        .offset:         3536
        .size:           8
        .value_kind:     global_buffer
      - .offset:         3544
        .size:           8
        .value_kind:     by_value
      - .offset:         3552
        .size:           8
        .value_kind:     by_value
      - .offset:         3560
        .size:           8
        .value_kind:     by_value
      - .offset:         3568
        .size:           8
        .value_kind:     by_value
      - .offset:         3576
        .size:           1
        .value_kind:     by_value
      - .address_space:  global
        .offset:         3584
        .size:           8
        .value_kind:     global_buffer
      - .address_space:  global
        .offset:         3592
        .size:           8
        .value_kind:     global_buffer
      - .offset:         3600
        .size:           4
        .value_kind:     hidden_block_count_x
      - .offset:         3604
        .size:           4
        .value_kind:     hidden_block_count_y
      - .offset:         3608
        .size:           4
        .value_kind:     hidden_block_count_z
      - .offset:         3612
        .size:           2
        .value_kind:     hidden_group_size_x
      - .offset:         3614
        .size:           2
        .value_kind:     hidden_group_size_y
      - .offset:         3616
        .size:           2
        .value_kind:     hidden_group_size_z
      - .offset:         3618
        .size:           2
        .value_kind:     hidden_remainder_x
      - .offset:         3620
        .size:           2
        .value_kind:     hidden_remainder_y
      - .offset:         3622
        .size:           2
        .value_kind:     hidden_remainder_z
      - .offset:         3640
        .size:           8
        .value_kind:     hidden_global_offset_x
      - .offset:         3648
        .size:           8
        .value_kind:     hidden_global_offset_y
      - .offset:         3656
        .size:           8
        .value_kind:     hidden_global_offset_z
      - .offset:         3664
        .size:           2
        .value_kind:     hidden_grid_dims
    .group_segment_fixed_size: 0
    .kernarg_segment_align: 8
    .kernarg_segment_size: 3856
    .language:       OpenCL C
    .language_version:
      - 2
      - 0
    .max_flat_workgroup_size: 512
    .name:           _ZN2at6native12_GLOBAL__N_125multi_tensor_apply_kernelINS1_32FusedOptimizerTensorListMetadataILi3EEENS1_23FusedAdagradMathFunctorIfEEJPKfddddbS8_S8_EEEvT_T0_DpT1_
    .private_segment_fixed_size: 0
    .sgpr_count:     47
    .sgpr_spill_count: 0
    .symbol:         _ZN2at6native12_GLOBAL__N_125multi_tensor_apply_kernelINS1_32FusedOptimizerTensorListMetadataILi3EEENS1_23FusedAdagradMathFunctorIfEEJPKfddddbS8_S8_EEEvT_T0_DpT1_.kd
    .uniform_work_group_size: 1
    .uses_dynamic_stack: false
    .vgpr_count:     60
    .vgpr_spill_count: 0
    .wavefront_size: 64
  - .agpr_count:     0
    .args:
      - .offset:         0
        .size:           3528
        .value_kind:     by_value
      - .offset:         3528
        .size:           1
        .value_kind:     by_value
      - .address_space:  global
        .offset:         3536
        .size:           8
        .value_kind:     global_buffer
      - .offset:         3544
        .size:           8
        .value_kind:     by_value
      - .offset:         3552
        .size:           8
        .value_kind:     by_value
      - .offset:         3560
        .size:           8
        .value_kind:     by_value
      - .offset:         3568
        .size:           8
        .value_kind:     by_value
      - .offset:         3576
        .size:           1
        .value_kind:     by_value
      - .address_space:  global
        .offset:         3584
        .size:           8
        .value_kind:     global_buffer
      - .address_space:  global
        .offset:         3592
        .size:           8
        .value_kind:     global_buffer
      - .offset:         3600
        .size:           4
        .value_kind:     hidden_block_count_x
      - .offset:         3604
        .size:           4
        .value_kind:     hidden_block_count_y
      - .offset:         3608
        .size:           4
        .value_kind:     hidden_block_count_z
      - .offset:         3612
        .size:           2
        .value_kind:     hidden_group_size_x
      - .offset:         3614
        .size:           2
        .value_kind:     hidden_group_size_y
      - .offset:         3616
        .size:           2
        .value_kind:     hidden_group_size_z
      - .offset:         3618
        .size:           2
        .value_kind:     hidden_remainder_x
      - .offset:         3620
        .size:           2
        .value_kind:     hidden_remainder_y
      - .offset:         3622
        .size:           2
        .value_kind:     hidden_remainder_z
      - .offset:         3640
        .size:           8
        .value_kind:     hidden_global_offset_x
      - .offset:         3648
        .size:           8
        .value_kind:     hidden_global_offset_y
      - .offset:         3656
        .size:           8
        .value_kind:     hidden_global_offset_z
      - .offset:         3664
        .size:           2
        .value_kind:     hidden_grid_dims
    .group_segment_fixed_size: 0
    .kernarg_segment_align: 8
    .kernarg_segment_size: 3856
    .language:       OpenCL C
    .language_version:
      - 2
      - 0
    .max_flat_workgroup_size: 512
    .name:           _ZN2at6native12_GLOBAL__N_125multi_tensor_apply_kernelINS1_32FusedOptimizerTensorListMetadataILi3EEENS1_23FusedAdagradMathFunctorIN3c104HalfEEEJPKfddddbSA_SA_EEEvT_T0_DpT1_
    .private_segment_fixed_size: 0
    .sgpr_count:     48
    .sgpr_spill_count: 0
    .symbol:         _ZN2at6native12_GLOBAL__N_125multi_tensor_apply_kernelINS1_32FusedOptimizerTensorListMetadataILi3EEENS1_23FusedAdagradMathFunctorIN3c104HalfEEEJPKfddddbSA_SA_EEEvT_T0_DpT1_.kd
    .uniform_work_group_size: 1
    .uses_dynamic_stack: false
    .vgpr_count:     60
    .vgpr_spill_count: 0
    .wavefront_size: 64
  - .agpr_count:     0
    .args:
      - .offset:         0
        .size:           3528
        .value_kind:     by_value
      - .offset:         3528
        .size:           1
        .value_kind:     by_value
      - .address_space:  global
        .offset:         3536
        .size:           8
        .value_kind:     global_buffer
      - .offset:         3544
        .size:           8
        .value_kind:     by_value
      - .offset:         3552
        .size:           8
        .value_kind:     by_value
      - .offset:         3560
        .size:           8
        .value_kind:     by_value
      - .offset:         3568
        .size:           8
        .value_kind:     by_value
      - .offset:         3576
        .size:           1
        .value_kind:     by_value
      - .address_space:  global
        .offset:         3584
        .size:           8
        .value_kind:     global_buffer
      - .address_space:  global
        .offset:         3592
        .size:           8
        .value_kind:     global_buffer
      - .offset:         3600
        .size:           4
        .value_kind:     hidden_block_count_x
      - .offset:         3604
        .size:           4
        .value_kind:     hidden_block_count_y
      - .offset:         3608
        .size:           4
        .value_kind:     hidden_block_count_z
      - .offset:         3612
        .size:           2
        .value_kind:     hidden_group_size_x
      - .offset:         3614
        .size:           2
        .value_kind:     hidden_group_size_y
      - .offset:         3616
        .size:           2
        .value_kind:     hidden_group_size_z
      - .offset:         3618
        .size:           2
        .value_kind:     hidden_remainder_x
      - .offset:         3620
        .size:           2
        .value_kind:     hidden_remainder_y
      - .offset:         3622
        .size:           2
        .value_kind:     hidden_remainder_z
      - .offset:         3640
        .size:           8
        .value_kind:     hidden_global_offset_x
      - .offset:         3648
        .size:           8
        .value_kind:     hidden_global_offset_y
      - .offset:         3656
        .size:           8
        .value_kind:     hidden_global_offset_z
      - .offset:         3664
        .size:           2
        .value_kind:     hidden_grid_dims
    .group_segment_fixed_size: 0
    .kernarg_segment_align: 8
    .kernarg_segment_size: 3856
    .language:       OpenCL C
    .language_version:
      - 2
      - 0
    .max_flat_workgroup_size: 512
    .name:           _ZN2at6native12_GLOBAL__N_125multi_tensor_apply_kernelINS1_32FusedOptimizerTensorListMetadataILi3EEENS1_23FusedAdagradMathFunctorIN3c108BFloat16EEEJPKfddddbSA_SA_EEEvT_T0_DpT1_
    .private_segment_fixed_size: 0
    .sgpr_count:     44
    .sgpr_spill_count: 0
    .symbol:         _ZN2at6native12_GLOBAL__N_125multi_tensor_apply_kernelINS1_32FusedOptimizerTensorListMetadataILi3EEENS1_23FusedAdagradMathFunctorIN3c108BFloat16EEEJPKfddddbSA_SA_EEEvT_T0_DpT1_.kd
    .uniform_work_group_size: 1
    .uses_dynamic_stack: false
    .vgpr_count:     62
    .vgpr_spill_count: 0
    .wavefront_size: 64
amdhsa.target:   amdgcn-amd-amdhsa--gfx90a
amdhsa.version:
  - 1
  - 2
...

	.end_amdgpu_metadata
